;; amdgpu-corpus repo=ROCm/rocFFT kind=compiled arch=gfx1201 opt=O3
	.text
	.amdgcn_target "amdgcn-amd-amdhsa--gfx1201"
	.amdhsa_code_object_version 6
	.protected	bluestein_single_back_len2160_dim1_dp_op_CI_CI ; -- Begin function bluestein_single_back_len2160_dim1_dp_op_CI_CI
	.globl	bluestein_single_back_len2160_dim1_dp_op_CI_CI
	.p2align	8
	.type	bluestein_single_back_len2160_dim1_dp_op_CI_CI,@function
bluestein_single_back_len2160_dim1_dp_op_CI_CI: ; @bluestein_single_back_len2160_dim1_dp_op_CI_CI
; %bb.0:
	s_load_b128 s[12:15], s[0:1], 0x28
	v_mul_u32_u24_e32 v1, 0x445, v0
	s_mov_b32 s2, exec_lo
	v_mov_b32_e32 v10, 0
	s_delay_alu instid0(VALU_DEP_2) | instskip(NEXT) | instid1(VALU_DEP_1)
	v_lshrrev_b32_e32 v1, 16, v1
	v_add_nc_u32_e32 v9, ttmp9, v1
	s_wait_kmcnt 0x0
	s_delay_alu instid0(VALU_DEP_1)
	v_cmpx_gt_u64_e64 s[12:13], v[9:10]
	s_cbranch_execz .LBB0_15
; %bb.1:
	s_clause 0x1
	s_load_b128 s[4:7], s[0:1], 0x18
	s_load_b64 s[12:13], s[0:1], 0x0
	v_mul_lo_u16 v1, v1, 60
	v_mov_b32_e32 v10, v9
	s_delay_alu instid0(VALU_DEP_2) | instskip(NEXT) | instid1(VALU_DEP_1)
	v_sub_nc_u16 v2, v0, v1
	v_and_b32_e32 v11, 0xffff, v2
	s_delay_alu instid0(VALU_DEP_1)
	v_or_b32_e32 v12, 0x6c0, v11
	v_lshlrev_b32_e32 v216, 4, v11
	v_or_b32_e32 v13, 0x300, v11
	s_wait_kmcnt 0x0
	s_load_b128 s[8:11], s[4:5], 0x0
	s_clause 0x1
	global_load_b128 v[225:228], v216, s[12:13]
	global_load_b128 v[221:224], v216, s[12:13] offset:3456
	s_clause 0x3
	scratch_store_b64 off, v[10:11], off offset:76
	scratch_store_b32 off, v12, off offset:84
	scratch_store_b32 off, v13, off offset:88
	scratch_store_b32 off, v11, off
	s_wait_kmcnt 0x0
	v_mad_co_u64_u32 v[0:1], null, s10, v9, 0
	v_mad_co_u64_u32 v[3:4], null, s8, v11, 0
	;; [unrolled: 1-line block ×4, first 2 shown]
	s_delay_alu instid0(VALU_DEP_4) | instskip(SKIP_2) | instid1(VALU_DEP_3)
	v_mad_co_u64_u32 v[9:10], null, s11, v9, v[1:2]
	s_mul_i32 s4, s9, 0x1b00
	s_mul_u64 s[2:3], s[8:9], 0xd8
	v_mad_co_u64_u32 v[10:11], null, s9, v11, v[4:5]
	s_delay_alu instid0(VALU_DEP_3) | instskip(NEXT) | instid1(VALU_DEP_3)
	v_mad_co_u64_u32 v[11:12], null, s9, v12, v[6:7]
	v_mov_b32_e32 v1, v9
	v_mad_co_u64_u32 v[12:13], null, s9, v13, v[8:9]
	s_lshl_b64 s[10:11], s[2:3], 4
	s_delay_alu instid0(VALU_DEP_4) | instskip(NEXT) | instid1(VALU_DEP_3)
	v_mov_b32_e32 v4, v10
	v_lshlrev_b64_e32 v[0:1], 4, v[0:1]
	v_mov_b32_e32 v6, v11
	s_clause 0x1
	global_load_b128 v[191:194], v216, s[12:13] offset:27648
	global_load_b128 v[131:134], v216, s[12:13] offset:12288
	v_lshlrev_b64_e32 v[3:4], 4, v[3:4]
	v_mov_b32_e32 v8, v12
	v_add_co_u32 v11, vcc_lo, s14, v0
	v_lshlrev_b64_e32 v[5:6], 4, v[5:6]
	v_add_co_ci_u32_e32 v12, vcc_lo, s15, v1, vcc_lo
	s_delay_alu instid0(VALU_DEP_4) | instskip(NEXT) | instid1(VALU_DEP_4)
	v_lshlrev_b64_e32 v[0:1], 4, v[7:8]
	v_add_co_u32 v7, vcc_lo, v11, v3
	s_wait_alu 0xfffd
	s_delay_alu instid0(VALU_DEP_3)
	v_add_co_ci_u32_e32 v8, vcc_lo, v12, v4, vcc_lo
	v_add_co_u32 v9, vcc_lo, v11, v5
	s_wait_alu 0xfffd
	v_add_co_ci_u32_e32 v10, vcc_lo, v12, v6, vcc_lo
	v_add_co_u32 v0, vcc_lo, v11, v0
	s_wait_alu 0xfffd
	v_add_co_ci_u32_e32 v1, vcc_lo, v12, v1, vcc_lo
	s_wait_alu 0xfffe
	v_add_co_u32 v15, vcc_lo, v7, s10
	global_load_b128 v[3:6], v[7:8], off
	s_wait_alu 0xfffd
	v_add_co_ci_u32_e32 v16, vcc_lo, s11, v8, vcc_lo
	s_clause 0x1
	global_load_b128 v[7:10], v[9:10], off
	global_load_b128 v[11:14], v[0:1], off
	v_add_co_u32 v0, vcc_lo, v15, s10
	s_wait_alu 0xfffd
	v_add_co_ci_u32_e32 v1, vcc_lo, s11, v16, vcc_lo
	global_load_b128 v[15:18], v[15:16], off
	v_add_co_u32 v27, vcc_lo, v0, s10
	s_wait_alu 0xfffd
	v_add_co_ci_u32_e32 v28, vcc_lo, s11, v1, vcc_lo
	s_clause 0x1
	global_load_b128 v[241:244], v216, s[12:13] offset:6912
	global_load_b128 v[237:240], v216, s[12:13] offset:10368
	s_clause 0x1
	global_load_b128 v[19:22], v[0:1], off
	global_load_b128 v[23:26], v[27:28], off
	v_add_co_u32 v0, vcc_lo, v27, s10
	s_wait_alu 0xfffd
	v_add_co_ci_u32_e32 v1, vcc_lo, s11, v28, vcc_lo
	global_load_b128 v[233:236], v216, s[12:13] offset:13824
	v_add_co_u32 v31, vcc_lo, v0, s10
	s_wait_alu 0xfffd
	v_add_co_ci_u32_e32 v32, vcc_lo, s11, v1, vcc_lo
	s_clause 0x1
	global_load_b128 v[229:232], v216, s[12:13] offset:17280
	global_load_b128 v[217:220], v216, s[12:13] offset:20736
	global_load_b128 v[27:30], v[0:1], off
	v_add_co_u32 v35, vcc_lo, v31, s10
	s_wait_alu 0xfffd
	v_add_co_ci_u32_e32 v36, vcc_lo, s11, v32, vcc_lo
	global_load_b128 v[211:214], v216, s[12:13] offset:24192
	global_load_b128 v[31:34], v[31:32], off
	global_load_b128 v[199:202], v216, s[12:13] offset:31104
	v_add_co_u32 v39, vcc_lo, v35, s10
	s_wait_alu 0xfffd
	v_add_co_ci_u32_e32 v40, vcc_lo, s11, v36, vcc_lo
	global_load_b128 v[35:38], v[35:36], off
	s_movk_i32 s2, 0xf8a4
	s_mov_b32 s3, -1
	v_mad_co_u64_u32 v[0:1], null, 0x1b00, s8, v[39:40]
	global_load_b128 v[39:42], v[39:40], off
	s_mul_u64 s[2:3], s[8:9], s[2:3]
	s_delay_alu instid0(SALU_CYCLE_1) | instskip(SKIP_3) | instid1(VALU_DEP_2)
	s_lshl_b64 s[2:3], s[2:3], 4
	v_add_nc_u32_e32 v1, s4, v1
	v_add_co_u32 v51, vcc_lo, v0, s2
	s_wait_alu 0xfffd
	v_add_co_ci_u32_e32 v52, vcc_lo, s3, v1, vcc_lo
	global_load_b128 v[43:46], v[0:1], off
	global_load_b128 v[207:210], v216, s[12:13] offset:960
	global_load_b128 v[47:50], v[51:52], off
	s_clause 0x2
	global_load_b128 v[183:186], v216, s[12:13] offset:11328
	global_load_b128 v[203:206], v216, s[12:13] offset:4416
	;; [unrolled: 1-line block ×3, first 2 shown]
	v_add_co_u32 v0, vcc_lo, v51, s10
	s_wait_alu 0xfffd
	v_add_co_ci_u32_e32 v1, vcc_lo, s11, v52, vcc_lo
	global_load_b128 v[179:182], v216, s[12:13] offset:14784
	v_add_co_u32 v55, vcc_lo, v0, s10
	s_wait_alu 0xfffd
	v_add_co_ci_u32_e32 v56, vcc_lo, s11, v1, vcc_lo
	global_load_b128 v[51:54], v[0:1], off
	v_add_co_u32 v0, vcc_lo, v55, s10
	s_wait_alu 0xfffd
	v_add_co_ci_u32_e32 v1, vcc_lo, s11, v56, vcc_lo
	global_load_b128 v[55:58], v[55:56], off
	v_add_co_u32 v63, vcc_lo, v0, s10
	global_load_b128 v[59:62], v[0:1], off
	s_wait_alu 0xfffd
	v_add_co_ci_u32_e32 v64, vcc_lo, s11, v1, vcc_lo
	v_add_co_u32 v0, vcc_lo, v63, s10
	s_wait_alu 0xfffd
	s_delay_alu instid0(VALU_DEP_2)
	v_add_co_ci_u32_e32 v1, vcc_lo, s11, v64, vcc_lo
	global_load_b128 v[63:66], v[63:64], off
	global_load_b128 v[187:190], v216, s[12:13] offset:18240
	global_load_b128 v[67:70], v[0:1], off
	global_load_b128 v[171:174], v216, s[12:13] offset:21696
	v_add_co_u32 v0, vcc_lo, v0, s10
	s_wait_alu 0xfffd
	v_add_co_ci_u32_e32 v1, vcc_lo, s11, v1, vcc_lo
	global_load_b128 v[167:170], v216, s[12:13] offset:25152
	v_add_co_u32 v75, vcc_lo, v0, s10
	global_load_b128 v[71:74], v[0:1], off
	s_wait_alu 0xfffd
	v_add_co_ci_u32_e32 v76, vcc_lo, s11, v1, vcc_lo
	v_add_co_u32 v0, vcc_lo, v75, s10
	s_wait_alu 0xfffd
	s_delay_alu instid0(VALU_DEP_2)
	v_add_co_ci_u32_e32 v1, vcc_lo, s11, v76, vcc_lo
	global_load_b128 v[75:78], v[75:76], off
	global_load_b128 v[175:178], v216, s[12:13] offset:28608
	global_load_b128 v[79:82], v[0:1], off
	v_add_co_u32 v0, vcc_lo, v0, s10
	s_wait_alu 0xfffd
	v_add_co_ci_u32_e32 v1, vcc_lo, s11, v1, vcc_lo
	global_load_b128 v[163:166], v216, s[12:13] offset:32064
	global_load_b128 v[83:86], v[0:1], off
	v_add_co_u32 v0, vcc_lo, v0, s2
	s_wait_alu 0xfffd
	v_add_co_ci_u32_e32 v1, vcc_lo, s3, v1, vcc_lo
	;; [unrolled: 5-line block ×4, first 2 shown]
	global_load_b128 v[143:146], v216, s[12:13] offset:8832
	global_load_b128 v[95:98], v[0:1], off
	v_mad_co_u64_u32 v[0:1], null, 0x1b00, s8, v[0:1]
	s_delay_alu instid0(VALU_DEP_1)
	v_add_nc_u32_e32 v1, s4, v1
	global_load_b128 v[135:138], v216, s[12:13] offset:15744
	global_load_b128 v[99:102], v[0:1], off
	v_add_co_u32 v0, vcc_lo, v0, s10
	s_wait_alu 0xfffd
	v_add_co_ci_u32_e32 v1, vcc_lo, s11, v1, vcc_lo
	s_clause 0x2
	global_load_b128 v[139:142], v216, s[12:13] offset:19200
	global_load_b128 v[147:150], v216, s[12:13] offset:22656
	global_load_b128 v[155:158], v216, s[12:13] offset:29568
	global_load_b128 v[103:106], v[0:1], off
	v_add_co_u32 v0, vcc_lo, v0, s10
	s_wait_alu 0xfffd
	v_add_co_ci_u32_e32 v1, vcc_lo, s11, v1, vcc_lo
	s_wait_loadcnt 0x35
	scratch_store_b128 off, v[225:228], off offset:492 ; 16-byte Folded Spill
	s_wait_loadcnt 0x34
	scratch_store_b128 off, v[221:224], off offset:476 ; 16-byte Folded Spill
	;; [unrolled: 2-line block ×3, first 2 shown]
	s_wait_loadcnt 0x31
	v_mul_f64_e32 v[107:108], v[5:6], v[227:228]
	v_mul_f64_e32 v[109:110], v[3:4], v[227:228]
	s_wait_loadcnt 0x30
	v_mul_f64_e32 v[111:112], v[9:10], v[193:194]
	v_mul_f64_e32 v[113:114], v[7:8], v[193:194]
	;; [unrolled: 3-line block ×4, first 2 shown]
	s_wait_loadcnt 0x2d
	scratch_store_b128 off, v[241:244], off offset:556 ; 16-byte Folded Spill
	s_wait_loadcnt 0x2c
	scratch_store_b128 off, v[237:240], off offset:540 ; 16-byte Folded Spill
	s_wait_loadcnt 0x2b
	v_mul_f64_e32 v[123:124], v[21:22], v[243:244]
	s_wait_loadcnt 0x2a
	v_mul_f64_e32 v[127:128], v[25:26], v[239:240]
	v_mul_f64_e32 v[129:130], v[23:24], v[239:240]
	;; [unrolled: 1-line block ×3, first 2 shown]
	s_wait_loadcnt 0x29
	scratch_store_b128 off, v[233:236], off offset:524 ; 16-byte Folded Spill
	s_wait_loadcnt 0x28
	scratch_store_b128 off, v[229:232], off offset:508 ; 16-byte Folded Spill
	;; [unrolled: 2-line block ×5, first 2 shown]
	v_fma_f64 v[3:4], v[3:4], v[225:226], v[107:108]
	v_fma_f64 v[5:6], v[5:6], v[225:226], -v[109:110]
	v_mul_f64_e32 v[107:108], v[29:30], v[235:236]
	v_mul_f64_e32 v[109:110], v[27:28], v[235:236]
	v_fma_f64 v[7:8], v[7:8], v[191:192], v[111:112]
	v_fma_f64 v[9:10], v[9:10], v[191:192], -v[113:114]
	v_mul_f64_e32 v[111:112], v[33:34], v[231:232]
	v_mul_f64_e32 v[113:114], v[31:32], v[231:232]
	v_fma_f64 v[11:12], v[11:12], v[131:132], v[115:116]
	v_fma_f64 v[13:14], v[13:14], v[131:132], -v[117:118]
	s_wait_loadcnt 0x22
	v_mul_f64_e32 v[115:116], v[37:38], v[219:220]
	v_mul_f64_e32 v[117:118], v[35:36], v[219:220]
	v_fma_f64 v[15:16], v[15:16], v[221:222], v[119:120]
	v_fma_f64 v[17:18], v[17:18], v[221:222], -v[121:122]
	s_wait_loadcnt 0x1b
	scratch_store_b128 off, v[195:198], off offset:380 ; 16-byte Folded Spill
	v_mul_f64_e32 v[119:120], v[41:42], v[213:214]
	v_mul_f64_e32 v[121:122], v[39:40], v[213:214]
	global_load_b128 v[131:134], v216, s[12:13] offset:26112
	v_fma_f64 v[23:24], v[23:24], v[237:238], v[127:128]
	v_fma_f64 v[25:26], v[25:26], v[237:238], -v[129:130]
	v_mul_f64_e32 v[127:128], v[49:50], v[209:210]
	v_mul_f64_e32 v[129:130], v[47:48], v[209:210]
	v_fma_f64 v[19:20], v[19:20], v[241:242], v[123:124]
	v_fma_f64 v[21:22], v[21:22], v[241:242], -v[125:126]
	v_mul_f64_e32 v[123:124], v[45:46], v[201:202]
	v_mul_f64_e32 v[125:126], v[43:44], v[201:202]
	s_clause 0x2
	scratch_store_b128 off, v[207:210], off offset:428
	scratch_store_b128 off, v[203:206], off offset:412
	scratch_store_b128 off, v[183:186], off offset:316
	s_wait_loadcnt 0x1b
	scratch_store_b128 off, v[179:182], off offset:300 ; 16-byte Folded Spill
	s_wait_loadcnt 0x16
	scratch_store_b128 off, v[187:190], off offset:332 ; 16-byte Folded Spill
	v_fma_f64 v[27:28], v[27:28], v[233:234], v[107:108]
	v_fma_f64 v[29:30], v[29:30], v[233:234], -v[109:110]
	global_load_b128 v[107:110], v[0:1], off
	v_add_co_u32 v0, vcc_lo, v0, s10
	v_fma_f64 v[31:32], v[31:32], v[229:230], v[111:112]
	v_fma_f64 v[33:34], v[33:34], v[229:230], -v[113:114]
	v_mul_f64_e32 v[111:112], v[53:54], v[205:206]
	v_mul_f64_e32 v[113:114], v[51:52], v[205:206]
	v_fma_f64 v[35:36], v[35:36], v[217:218], v[115:116]
	v_fma_f64 v[37:38], v[37:38], v[217:218], -v[117:118]
	v_mul_f64_e32 v[115:116], v[57:58], v[197:198]
	v_mul_f64_e32 v[117:118], v[55:56], v[197:198]
	;; [unrolled: 4-line block ×3, first 2 shown]
	s_wait_loadcnt 0x11
	scratch_store_b128 off, v[175:178], off offset:284 ; 16-byte Folded Spill
	s_wait_alu 0xfffd
	v_add_co_ci_u32_e32 v1, vcc_lo, s11, v1, vcc_lo
	v_fma_f64 v[47:48], v[47:48], v[207:208], v[127:128]
	v_fma_f64 v[49:50], v[49:50], v[207:208], -v[129:130]
	v_mul_f64_e32 v[127:128], v[69:70], v[189:190]
	v_mul_f64_e32 v[129:130], v[67:68], v[189:190]
	v_fma_f64 v[43:44], v[43:44], v[199:200], v[123:124]
	v_fma_f64 v[45:46], v[45:46], v[199:200], -v[125:126]
	v_mul_f64_e32 v[123:124], v[65:66], v[181:182]
	v_mul_f64_e32 v[125:126], v[63:64], v[181:182]
	s_clause 0x1
	scratch_store_b128 off, v[171:174], off offset:268
	scratch_store_b128 off, v[167:170], off offset:252
	s_wait_loadcnt 0xd
	scratch_store_b128 off, v[159:162], off offset:204 ; 16-byte Folded Spill
	s_wait_loadcnt 0xb
	scratch_store_b128 off, v[151:154], off offset:172 ; 16-byte Folded Spill
	v_fma_f64 v[51:52], v[51:52], v[203:204], v[111:112]
	v_fma_f64 v[53:54], v[53:54], v[203:204], -v[113:114]
	global_load_b128 v[111:114], v[0:1], off
	v_add_co_u32 v0, vcc_lo, v0, s10
	v_fma_f64 v[55:56], v[55:56], v[195:196], v[115:116]
	v_fma_f64 v[57:58], v[57:58], v[195:196], -v[117:118]
	v_mul_f64_e32 v[115:116], v[73:74], v[173:174]
	v_mul_f64_e32 v[117:118], v[71:72], v[173:174]
	v_fma_f64 v[59:60], v[59:60], v[183:184], v[119:120]
	v_fma_f64 v[61:62], v[61:62], v[183:184], -v[121:122]
	v_mul_f64_e32 v[119:120], v[77:78], v[169:170]
	v_mul_f64_e32 v[121:122], v[75:76], v[169:170]
	s_wait_alu 0xfffd
	v_add_co_ci_u32_e32 v1, vcc_lo, s11, v1, vcc_lo
	v_fma_f64 v[67:68], v[67:68], v[187:188], v[127:128]
	v_fma_f64 v[69:70], v[69:70], v[187:188], -v[129:130]
	s_wait_loadcnt 0x5
	scratch_store_b128 off, v[147:150], off offset:156 ; 16-byte Folded Spill
	global_load_b128 v[127:130], v216, s[12:13] offset:33024
	v_fma_f64 v[63:64], v[63:64], v[179:180], v[123:124]
	v_fma_f64 v[65:66], v[65:66], v[179:180], -v[125:126]
	v_mul_f64_e32 v[123:124], v[81:82], v[177:178]
	v_mul_f64_e32 v[125:126], v[79:80], v[177:178]
	s_clause 0x4
	scratch_store_b128 off, v[191:194], off offset:364
	scratch_store_b128 off, v[163:166], off offset:220
	;; [unrolled: 1-line block ×5, first 2 shown]
	s_wait_loadcnt 0x5
	scratch_store_b128 off, v[155:158], off offset:188 ; 16-byte Folded Spill
	v_fma_f64 v[71:72], v[71:72], v[171:172], v[115:116]
	v_fma_f64 v[73:74], v[73:74], v[171:172], -v[117:118]
	global_load_b128 v[115:118], v[0:1], off
	v_add_co_u32 v0, vcc_lo, v0, s10
	v_fma_f64 v[75:76], v[75:76], v[167:168], v[119:120]
	v_fma_f64 v[77:78], v[77:78], v[167:168], -v[121:122]
	v_mul_f64_e32 v[119:120], v[85:86], v[165:166]
	v_mul_f64_e32 v[121:122], v[83:84], v[165:166]
	s_wait_alu 0xfffd
	v_add_co_ci_u32_e32 v1, vcc_lo, s11, v1, vcc_lo
	v_cmp_gt_u16_e32 vcc_lo, 36, v2
	v_fma_f64 v[79:80], v[79:80], v[175:176], v[123:124]
	v_fma_f64 v[81:82], v[81:82], v[175:176], -v[125:126]
	v_fma_f64 v[83:84], v[83:84], v[163:164], v[119:120]
	v_fma_f64 v[85:86], v[85:86], v[163:164], -v[121:122]
	v_mul_f64_e32 v[119:120], v[89:90], v[161:162]
	v_mul_f64_e32 v[121:122], v[87:88], v[161:162]
	s_delay_alu instid0(VALU_DEP_2) | instskip(NEXT) | instid1(VALU_DEP_2)
	v_fma_f64 v[87:88], v[87:88], v[159:160], v[119:120]
	v_fma_f64 v[89:90], v[89:90], v[159:160], -v[121:122]
	v_mul_f64_e32 v[119:120], v[93:94], v[153:154]
	v_mul_f64_e32 v[121:122], v[91:92], v[153:154]
	s_delay_alu instid0(VALU_DEP_2) | instskip(NEXT) | instid1(VALU_DEP_2)
	;; [unrolled: 5-line block ×4, first 2 shown]
	v_fma_f64 v[99:100], v[99:100], v[135:136], v[119:120]
	v_fma_f64 v[101:102], v[101:102], v[135:136], -v[121:122]
	s_wait_loadcnt 0x5
	v_mul_f64_e32 v[119:120], v[105:106], v[141:142]
	v_mul_f64_e32 v[121:122], v[103:104], v[141:142]
	s_wait_loadcnt 0x4
	scratch_store_b128 off, v[131:134], off offset:236 ; 16-byte Folded Spill
	v_fma_f64 v[103:104], v[103:104], v[139:140], v[119:120]
	v_fma_f64 v[105:106], v[105:106], v[139:140], -v[121:122]
	s_wait_loadcnt 0x3
	v_mul_f64_e32 v[119:120], v[109:110], v[149:150]
	v_mul_f64_e32 v[121:122], v[107:108], v[149:150]
	s_delay_alu instid0(VALU_DEP_2) | instskip(NEXT) | instid1(VALU_DEP_2)
	v_fma_f64 v[107:108], v[107:108], v[147:148], v[119:120]
	v_fma_f64 v[109:110], v[109:110], v[147:148], -v[121:122]
	s_wait_loadcnt 0x2
	v_mul_f64_e32 v[119:120], v[113:114], v[133:134]
	v_mul_f64_e32 v[121:122], v[111:112], v[133:134]
	s_wait_loadcnt 0x1
	scratch_store_b128 off, v[127:130], off offset:348 ; 16-byte Folded Spill
	v_fma_f64 v[111:112], v[111:112], v[131:132], v[119:120]
	v_fma_f64 v[113:114], v[113:114], v[131:132], -v[121:122]
	s_wait_loadcnt 0x0
	v_mul_f64_e32 v[119:120], v[117:118], v[157:158]
	v_mul_f64_e32 v[121:122], v[115:116], v[157:158]
	s_delay_alu instid0(VALU_DEP_2) | instskip(NEXT) | instid1(VALU_DEP_2)
	v_fma_f64 v[115:116], v[115:116], v[155:156], v[119:120]
	v_fma_f64 v[117:118], v[117:118], v[155:156], -v[121:122]
	global_load_b128 v[119:122], v[0:1], off
	s_load_b64 s[8:9], s[0:1], 0x38
	s_load_b128 s[4:7], s[6:7], 0x0
	s_wait_loadcnt 0x0
	v_mul_f64_e32 v[123:124], v[121:122], v[129:130]
	v_mul_f64_e32 v[125:126], v[119:120], v[129:130]
	s_delay_alu instid0(VALU_DEP_2) | instskip(NEXT) | instid1(VALU_DEP_2)
	v_fma_f64 v[119:120], v[119:120], v[127:128], v[123:124]
	v_fma_f64 v[121:122], v[121:122], v[127:128], -v[125:126]
	v_add_co_u32 v123, s14, s12, v216
	s_wait_alu 0xf1ff
	v_add_co_ci_u32_e64 v124, null, s13, 0, s14
	scratch_store_b64 off, v[123:124], off offset:4 ; 8-byte Folded Spill
	ds_store_b128 v216, v[15:18] offset:3456
	ds_store_b128 v216, v[51:54] offset:4416
	;; [unrolled: 1-line block ×28, first 2 shown]
	ds_store_b128 v216, v[3:6]
	ds_store_b128 v216, v[119:122] offset:33024
	s_and_saveexec_b32 s14, vcc_lo
	s_cbranch_execz .LBB0_3
; %bb.2:
	v_add_co_u32 v0, s2, v0, s2
	s_wait_alu 0xf1ff
	v_add_co_ci_u32_e64 v1, s2, s3, v1, s2
	s_delay_alu instid0(VALU_DEP_2) | instskip(SKIP_1) | instid1(VALU_DEP_2)
	v_add_co_u32 v8, s2, v0, s10
	s_wait_alu 0xf1ff
	v_add_co_ci_u32_e64 v9, s2, s11, v1, s2
	global_load_b128 v[0:3], v[0:1], off
	global_load_b128 v[4:7], v[8:9], off
	scratch_load_b64 v[72:73], off, off offset:4 ; 8-byte Folded Reload
	v_add_co_u32 v16, s2, v8, s10
	s_wait_alu 0xf1ff
	v_add_co_ci_u32_e64 v17, s2, s11, v9, s2
	s_wait_loadcnt 0x0
	s_clause 0x1
	global_load_b128 v[8:11], v[72:73], off offset:2880
	global_load_b128 v[12:15], v[72:73], off offset:6336
	v_add_co_u32 v20, s2, v16, s10
	s_wait_alu 0xf1ff
	v_add_co_ci_u32_e64 v21, s2, s11, v17, s2
	global_load_b128 v[16:19], v[16:17], off
	v_add_co_u32 v32, s2, v20, s10
	s_wait_alu 0xf1ff
	v_add_co_ci_u32_e64 v33, s2, s11, v21, s2
	global_load_b128 v[20:23], v[20:21], off
	v_add_co_u32 v36, s2, v32, s10
	s_wait_alu 0xf1ff
	v_add_co_ci_u32_e64 v37, s2, s11, v33, s2
	s_clause 0x1
	global_load_b128 v[24:27], v[72:73], off offset:9792
	global_load_b128 v[28:31], v[72:73], off offset:13248
	v_add_co_u32 v52, s2, v36, s10
	s_wait_alu 0xf1ff
	v_add_co_ci_u32_e64 v53, s2, s11, v37, s2
	global_load_b128 v[32:35], v[32:33], off
	global_load_b128 v[36:39], v[36:37], off
	s_clause 0x1
	global_load_b128 v[40:43], v[72:73], off offset:16704
	global_load_b128 v[44:47], v[72:73], off offset:20160
	global_load_b128 v[48:51], v[52:53], off
	v_add_co_u32 v56, s2, v52, s10
	s_wait_alu 0xf1ff
	v_add_co_ci_u32_e64 v57, s2, s11, v53, s2
	global_load_b128 v[52:55], v[72:73], off offset:23616
	v_add_co_u32 v64, s2, v56, s10
	s_wait_alu 0xf1ff
	v_add_co_ci_u32_e64 v65, s2, s11, v57, s2
	global_load_b128 v[56:59], v[56:57], off
	v_add_co_u32 v76, s2, v64, s10
	s_wait_alu 0xf1ff
	v_add_co_ci_u32_e64 v77, s2, s11, v65, s2
	global_load_b128 v[60:63], v[72:73], off offset:27072
	global_load_b128 v[64:67], v[64:65], off
	s_clause 0x1
	global_load_b128 v[68:71], v[72:73], off offset:30528
	global_load_b128 v[72:75], v[72:73], off offset:33984
	global_load_b128 v[76:79], v[76:77], off
	s_wait_loadcnt 0x11
	v_mul_f64_e32 v[80:81], v[2:3], v[10:11]
	s_wait_loadcnt 0x10
	v_mul_f64_e32 v[82:83], v[6:7], v[14:15]
	v_mul_f64_e32 v[14:15], v[4:5], v[14:15]
	;; [unrolled: 1-line block ×3, first 2 shown]
	s_wait_loadcnt 0xd
	v_mul_f64_e32 v[84:85], v[18:19], v[26:27]
	v_mul_f64_e32 v[26:27], v[16:17], v[26:27]
	s_wait_loadcnt 0xc
	v_mul_f64_e32 v[86:87], v[22:23], v[30:31]
	v_mul_f64_e32 v[30:31], v[20:21], v[30:31]
	;; [unrolled: 3-line block ×8, first 2 shown]
	v_fma_f64 v[0:1], v[0:1], v[8:9], v[80:81]
	v_fma_f64 v[4:5], v[4:5], v[12:13], v[82:83]
	v_fma_f64 v[6:7], v[6:7], v[12:13], -v[14:15]
	v_fma_f64 v[2:3], v[2:3], v[8:9], -v[10:11]
	v_fma_f64 v[8:9], v[16:17], v[24:25], v[84:85]
	v_fma_f64 v[10:11], v[18:19], v[24:25], -v[26:27]
	v_fma_f64 v[12:13], v[20:21], v[28:29], v[86:87]
	;; [unrolled: 2-line block ×8, first 2 shown]
	v_fma_f64 v[38:39], v[78:79], v[72:73], -v[74:75]
	ds_store_b128 v216, v[4:7] offset:6336
	ds_store_b128 v216, v[8:11] offset:9792
	;; [unrolled: 1-line block ×10, first 2 shown]
.LBB0_3:
	s_wait_alu 0xfffe
	s_or_b32 exec_lo, exec_lo, s14
	global_wb scope:SCOPE_SE
	s_wait_storecnt_dscnt 0x0
	s_wait_kmcnt 0x0
	s_barrier_signal -1
	s_barrier_wait -1
	global_inv scope:SCOPE_SE
	ds_load_b128 v[124:127], v216 offset:3456
	ds_load_b128 v[96:99], v216 offset:4416
	;; [unrolled: 1-line block ×28, first 2 shown]
	ds_load_b128 v[156:159], v216
	ds_load_b128 v[40:43], v216 offset:33024
	s_load_b64 s[0:1], s[0:1], 0x8
                                        ; implicit-def: $vgpr28_vgpr29
                                        ; implicit-def: $vgpr202_vgpr203
                                        ; implicit-def: $vgpr4_vgpr5
                                        ; implicit-def: $vgpr8_vgpr9
                                        ; implicit-def: $vgpr12_vgpr13
                                        ; implicit-def: $vgpr16_vgpr17
                                        ; implicit-def: $vgpr20_vgpr21
                                        ; implicit-def: $vgpr24_vgpr25
                                        ; implicit-def: $vgpr32_vgpr33
                                        ; implicit-def: $vgpr36_vgpr37
	s_and_saveexec_b32 s2, vcc_lo
	s_cbranch_execz .LBB0_5
; %bb.4:
	ds_load_b128 v[202:205], v216 offset:6336
	ds_load_b128 v[4:7], v216 offset:9792
	ds_load_b128 v[8:11], v216 offset:13248
	ds_load_b128 v[12:15], v216 offset:16704
	ds_load_b128 v[16:19], v216 offset:20160
	ds_load_b128 v[20:23], v216 offset:23616
	ds_load_b128 v[24:27], v216 offset:27072
	ds_load_b128 v[32:35], v216 offset:30528
	ds_load_b128 v[28:31], v216 offset:2880
	ds_load_b128 v[36:39], v216 offset:33984
.LBB0_5:
	s_wait_alu 0xfffe
	s_or_b32 exec_lo, exec_lo, s2
	s_wait_dscnt 0x1
	v_add_f64_e32 v[176:177], v[158:159], v[150:151]
	v_add_f64_e32 v[174:175], v[156:157], v[148:149]
	;; [unrolled: 1-line block ×5, first 2 shown]
	v_add_f64_e64 v[168:169], v[146:147], -v[142:143]
	v_add_f64_e64 v[0:1], v[148:149], -v[152:153]
	;; [unrolled: 1-line block ×3, first 2 shown]
	v_add_f64_e32 v[196:197], v[118:119], v[110:111]
	v_add_f64_e64 v[206:207], v[122:123], -v[134:135]
	v_add_f64_e64 v[190:191], v[134:135], -v[122:123]
	;; [unrolled: 1-line block ×6, first 2 shown]
	v_add_f64_e32 v[220:221], v[96:97], v[92:93]
	v_add_f64_e32 v[222:223], v[98:99], v[94:95]
	v_add_f64_e64 v[226:227], v[92:93], -v[88:89]
	v_add_f64_e64 v[218:219], v[94:95], -v[90:91]
	;; [unrolled: 1-line block ×5, first 2 shown]
	v_add_f64_e32 v[232:233], v[70:71], v[62:63]
	v_add_f64_e64 v[234:235], v[70:71], -v[62:63]
	v_add_f64_e64 v[242:243], v[70:71], -v[74:75]
	;; [unrolled: 1-line block ×3, first 2 shown]
	s_mov_b32 s14, 0x134454ff
	s_mov_b32 s15, 0x3fee6f0e
	;; [unrolled: 1-line block ×5, first 2 shown]
	s_wait_alu 0xfffe
	s_mov_b32 s18, s14
	s_mov_b32 s16, 0x372fe950
	;; [unrolled: 1-line block ×7, first 2 shown]
	v_add_f64_e32 v[176:177], v[176:177], v[154:155]
	v_add_f64_e32 v[174:175], v[174:175], v[152:153]
	v_fma_f64 v[160:161], v[160:161], -0.5, v[156:157]
	v_fma_f64 v[164:165], v[162:163], -0.5, v[156:157]
	v_add_f64_e64 v[156:157], v[150:151], -v[142:143]
	v_add_f64_e32 v[162:163], v[154:155], v[146:147]
	v_fma_f64 v[166:167], v[166:167], -0.5, v[158:159]
	scratch_store_b64 off, v[0:1], off offset:44 ; 8-byte Folded Spill
	v_add_f64_e64 v[0:1], v[152:153], -v[148:149]
	v_add_f64_e64 v[148:149], v[148:149], -v[140:141]
	v_add_f64_e32 v[196:197], v[196:197], v[114:115]
	v_add_f64_e64 v[152:153], v[152:153], -v[144:145]
	v_add_f64_e64 v[248:249], v[72:73], -v[64:65]
	v_add_f64_e32 v[2:3], v[186:187], v[2:3]
	v_add_f64_e64 v[246:247], v[74:75], -v[66:67]
	v_add_f64_e32 v[220:221], v[220:221], v[88:89]
	v_add_f64_e32 v[222:223], v[222:223], v[90:91]
	v_add_f64_e64 v[250:251], v[60:61], -v[64:65]
	v_add_f64_e64 v[252:253], v[64:65], -v[60:61]
	;; [unrolled: 1-line block ×3, first 2 shown]
	v_fma_f64 v[232:233], v[232:233], -0.5, v[78:79]
	v_add_f64_e32 v[176:177], v[176:177], v[146:147]
	v_add_f64_e32 v[178:179], v[174:175], v[144:145]
	v_add_f64_e64 v[174:175], v[142:143], -v[146:147]
	v_fma_f64 v[162:163], v[162:163], -0.5, v[158:159]
	v_add_f64_e64 v[158:159], v[140:141], -v[144:145]
	v_add_f64_e64 v[144:145], v[130:131], -v[138:139]
	scratch_store_b64 off, v[0:1], off offset:12 ; 8-byte Folded Spill
	v_add_f64_e64 v[0:1], v[154:155], -v[150:151]
	v_add_f64_e64 v[150:151], v[154:155], -v[146:147]
	;; [unrolled: 1-line block ×4, first 2 shown]
	v_add_f64_e32 v[196:197], v[196:197], v[106:107]
	v_add_f64_e32 v[224:225], v[220:221], v[84:85]
	;; [unrolled: 1-line block ×3, first 2 shown]
	v_add_f64_e64 v[220:221], v[80:81], -v[84:85]
	v_add_f64_e64 v[222:223], v[82:83], -v[86:87]
	v_add_f64_e32 v[194:195], v[176:177], v[142:143]
	v_add_f64_e32 v[142:143], v[130:131], v[122:123]
	;; [unrolled: 1-line block ×4, first 2 shown]
	v_add_f64_e64 v[176:177], v[138:139], -v[134:135]
	v_add_f64_e64 v[178:179], v[136:137], -v[132:133]
	v_add_f64_e32 v[172:173], v[172:173], v[174:175]
	v_add_f64_e32 v[186:187], v[144:145], v[206:207]
	scratch_store_b64 off, v[0:1], off offset:28 ; 8-byte Folded Spill
	v_add_f64_e64 v[0:1], v[66:67], -v[62:63]
	v_add_f64_e32 v[154:155], v[154:155], v[188:189]
	v_add_f64_e32 v[174:175], v[146:147], v[190:191]
	;; [unrolled: 1-line block ×5, first 2 shown]
	v_fma_f64 v[180:181], v[142:143], -0.5, v[126:127]
	v_add_f64_e32 v[142:143], v[128:129], v[120:121]
	v_fma_f64 v[140:141], v[140:141], -0.5, v[124:125]
	v_add_f64_e32 v[0:1], v[244:245], v[0:1]
	s_delay_alu instid0(VALU_DEP_3) | instskip(SKIP_2) | instid1(VALU_DEP_2)
	v_fma_f64 v[182:183], v[142:143], -0.5, v[124:125]
	v_add_f64_e32 v[142:143], v[138:139], v[134:135]
	v_add_f64_e32 v[124:125], v[124:125], v[128:129]
	v_fma_f64 v[142:143], v[142:143], -0.5, v[126:127]
	v_add_f64_e32 v[126:127], v[126:127], v[130:131]
	s_delay_alu instid0(VALU_DEP_3) | instskip(SKIP_2) | instid1(VALU_DEP_4)
	v_add_f64_e32 v[124:125], v[124:125], v[136:137]
	v_add_f64_e64 v[136:137], v[130:131], -v[122:123]
	v_add_f64_e64 v[130:131], v[108:109], -v[112:113]
	v_add_f64_e32 v[126:127], v[126:127], v[138:139]
	s_delay_alu instid0(VALU_DEP_4)
	v_add_f64_e32 v[124:125], v[124:125], v[132:133]
	v_add_f64_e64 v[138:139], v[128:129], -v[120:121]
	v_add_f64_e64 v[132:133], v[110:111], -v[114:115]
	;; [unrolled: 1-line block ×3, first 2 shown]
	v_add_f64_e32 v[126:127], v[126:127], v[134:135]
	v_add_f64_e32 v[134:135], v[116:117], v[108:109]
	;; [unrolled: 1-line block ×4, first 2 shown]
	s_delay_alu instid0(VALU_DEP_4) | instskip(SKIP_2) | instid1(VALU_DEP_4)
	v_add_f64_e32 v[212:213], v[126:127], v[122:123]
	v_add_f64_e32 v[122:123], v[108:109], v[100:101]
	;; [unrolled: 1-line block ×3, first 2 shown]
	v_fma_f64 v[120:121], v[120:121], -0.5, v[116:117]
	v_add_f64_e32 v[126:127], v[110:111], v[102:103]
	s_delay_alu instid0(VALU_DEP_4)
	v_fma_f64 v[124:125], v[122:123], -0.5, v[116:117]
	v_add_f64_e32 v[122:123], v[114:115], v[106:107]
	v_add_f64_e64 v[116:117], v[110:111], -v[102:103]
	v_add_f64_e64 v[110:111], v[114:115], -v[106:107]
	v_add_f64_e32 v[198:199], v[134:135], v[104:105]
	v_add_f64_e64 v[134:135], v[102:103], -v[106:107]
	v_add_f64_e64 v[106:107], v[106:107], -v[102:103]
	v_add_f64_e32 v[102:103], v[92:93], v[80:81]
	v_fma_f64 v[126:127], v[126:127], -0.5, v[118:119]
	v_add_f64_e64 v[114:115], v[100:101], -v[104:105]
	v_fma_f64 v[122:123], v[122:123], -0.5, v[118:119]
	v_add_f64_e64 v[118:119], v[112:113], -v[108:109]
	v_add_f64_e64 v[108:109], v[108:109], -v[100:101]
	;; [unrolled: 1-line block ×4, first 2 shown]
	v_add_f64_e32 v[208:209], v[198:199], v[100:101]
	v_add_f64_e32 v[100:101], v[88:89], v[84:85]
	v_fma_f64 v[196:197], v[102:103], -0.5, v[96:97]
	v_add_f64_e32 v[102:103], v[90:91], v[86:87]
	v_add_f64_e32 v[198:199], v[94:95], v[82:83]
	;; [unrolled: 1-line block ×6, first 2 shown]
	v_fma_f64 v[100:101], v[100:101], -0.5, v[96:97]
	v_add_f64_e64 v[96:97], v[94:95], -v[82:83]
	v_fma_f64 v[102:103], v[102:103], -0.5, v[98:99]
	v_fma_f64 v[198:199], v[198:199], -0.5, v[98:99]
	v_add_f64_e64 v[98:99], v[88:89], -v[92:93]
	v_add_f64_e64 v[92:93], v[92:93], -v[80:81]
	;; [unrolled: 1-line block ×7, first 2 shown]
	v_add_f64_e32 v[80:81], v[72:73], v[64:65]
	v_add_f64_e32 v[82:83], v[68:69], v[60:61]
	s_delay_alu instid0(VALU_DEP_4) | instskip(NEXT) | instid1(VALU_DEP_4)
	v_add_f64_e32 v[98:99], v[98:99], v[84:85]
	v_add_f64_e32 v[94:95], v[94:95], v[86:87]
	s_delay_alu instid0(VALU_DEP_4) | instskip(NEXT) | instid1(VALU_DEP_4)
	v_fma_f64 v[80:81], v[80:81], -0.5, v[76:77]
	v_fma_f64 v[224:225], v[82:83], -0.5, v[76:77]
	v_add_f64_e32 v[76:77], v[76:77], v[68:69]
	v_add_f64_e32 v[82:83], v[74:75], v[66:67]
	s_delay_alu instid0(VALU_DEP_2) | instskip(NEXT) | instid1(VALU_DEP_2)
	v_add_f64_e32 v[68:69], v[76:77], v[72:73]
	v_fma_f64 v[82:83], v[82:83], -0.5, v[78:79]
	v_add_f64_e32 v[78:79], v[78:79], v[70:71]
	s_delay_alu instid0(VALU_DEP_3) | instskip(SKIP_1) | instid1(VALU_DEP_3)
	v_add_f64_e32 v[68:69], v[68:69], v[64:65]
	v_add_f64_e64 v[64:65], v[192:193], -v[210:211]
	v_add_f64_e32 v[70:71], v[78:79], v[74:75]
	s_delay_alu instid0(VALU_DEP_3)
	v_add_f64_e32 v[184:185], v[68:69], v[60:61]
	scratch_load_b64 v[68:69], off, off offset:44 th:TH_LOAD_LU ; 8-byte Folded Reload
	v_add_f64_e32 v[70:71], v[70:71], v[66:67]
	v_add_f64_e32 v[60:61], v[192:193], v[210:211]
	;; [unrolled: 1-line block ×3, first 2 shown]
	v_add_f64_e64 v[66:67], v[194:195], -v[212:213]
	s_delay_alu instid0(VALU_DEP_4) | instskip(SKIP_4) | instid1(VALU_DEP_3)
	v_add_f64_e32 v[200:201], v[70:71], v[62:63]
	v_fma_f64 v[70:71], v[138:139], s[18:19], v[142:143]
	v_add_f64_e32 v[62:63], v[194:195], v[212:213]
	v_add_f64_e32 v[194:195], v[218:219], v[222:223]
	s_wait_alu 0xfffe
	v_fma_f64 v[70:71], v[178:179], s[10:11], v[70:71]
	s_delay_alu instid0(VALU_DEP_1) | instskip(SKIP_3) | instid1(VALU_DEP_1)
	v_fma_f64 v[70:71], v[186:187], s[16:17], v[70:71]
	s_wait_loadcnt 0x0
	v_add_f64_e32 v[158:159], v[68:69], v[158:159]
	v_fma_f64 v[68:69], v[136:137], s[14:15], v[140:141]
	v_fma_f64 v[68:69], v[176:177], s[2:3], v[68:69]
	s_delay_alu instid0(VALU_DEP_1) | instskip(NEXT) | instid1(VALU_DEP_1)
	v_fma_f64 v[68:69], v[2:3], s[16:17], v[68:69]
	v_mul_f64_e32 v[72:73], s[20:21], v[68:69]
	v_mul_f64_e32 v[68:69], s[10:11], v[68:69]
	s_delay_alu instid0(VALU_DEP_2) | instskip(NEXT) | instid1(VALU_DEP_2)
	v_fma_f64 v[72:73], v[70:71], s[2:3], v[72:73]
	v_fma_f64 v[74:75], v[70:71], s[20:21], v[68:69]
	;; [unrolled: 1-line block ×4, first 2 shown]
	s_delay_alu instid0(VALU_DEP_2) | instskip(NEXT) | instid1(VALU_DEP_2)
	v_fma_f64 v[68:69], v[150:151], s[2:3], v[68:69]
	v_fma_f64 v[70:71], v[152:153], s[10:11], v[70:71]
	s_delay_alu instid0(VALU_DEP_2) | instskip(NEXT) | instid1(VALU_DEP_2)
	v_fma_f64 v[76:77], v[158:159], s[16:17], v[68:69]
	v_fma_f64 v[78:79], v[172:173], s[16:17], v[70:71]
	s_delay_alu instid0(VALU_DEP_2)
	v_add_f64_e32 v[68:69], v[76:77], v[72:73]
	v_add_f64_e64 v[72:73], v[76:77], -v[72:73]
	scratch_load_b64 v[76:77], off, off offset:12 th:TH_LOAD_LU ; 8-byte Folded Reload
	v_add_f64_e32 v[70:71], v[78:79], v[74:75]
	v_add_f64_e64 v[74:75], v[78:79], -v[74:75]
	v_fma_f64 v[78:79], v[176:177], s[18:19], v[182:183]
	v_fma_f64 v[182:183], v[176:177], s[14:15], v[182:183]
	s_delay_alu instid0(VALU_DEP_2) | instskip(NEXT) | instid1(VALU_DEP_2)
	v_fma_f64 v[78:79], v[136:137], s[2:3], v[78:79]
	v_fma_f64 v[182:183], v[136:137], s[10:11], v[182:183]
	;; [unrolled: 1-line block ×4, first 2 shown]
	v_add_f64_e64 v[160:161], v[56:57], -v[44:45]
	v_fma_f64 v[78:79], v[154:155], s[16:17], v[78:79]
	v_fma_f64 v[154:155], v[154:155], s[16:17], v[182:183]
	;; [unrolled: 1-line block ×4, first 2 shown]
	s_wait_dscnt 0x0
	v_add_f64_e64 v[176:177], v[44:45], -v[40:41]
	v_add_f64_e64 v[182:183], v[42:43], -v[50:51]
	s_delay_alu instid0(VALU_DEP_4) | instskip(NEXT) | instid1(VALU_DEP_4)
	v_fma_f64 v[2:3], v[2:3], s[16:17], v[136:137]
	v_fma_f64 v[140:141], v[158:159], s[16:17], v[140:141]
	v_add_f64_e64 v[158:159], v[44:45], -v[56:57]
	s_wait_loadcnt 0x0
	v_add_f64_e32 v[170:171], v[76:77], v[170:171]
	scratch_load_b64 v[76:77], off, off offset:28 th:TH_LOAD_LU ; 8-byte Folded Reload
	s_wait_loadcnt 0x0
	v_add_f64_e32 v[168:169], v[76:77], v[168:169]
	v_fma_f64 v[76:77], v[178:179], s[14:15], v[180:181]
	v_fma_f64 v[180:181], v[178:179], s[18:19], v[180:181]
	s_delay_alu instid0(VALU_DEP_2) | instskip(NEXT) | instid1(VALU_DEP_2)
	v_fma_f64 v[76:77], v[138:139], s[10:11], v[76:77]
	v_fma_f64 v[180:181], v[138:139], s[2:3], v[180:181]
	;; [unrolled: 1-line block ×4, first 2 shown]
	v_add_f64_e64 v[162:163], v[46:47], -v[58:59]
	v_fma_f64 v[76:77], v[174:175], s[16:17], v[76:77]
	v_fma_f64 v[174:175], v[174:175], s[16:17], v[180:181]
	;; [unrolled: 1-line block ×4, first 2 shown]
	v_add_f64_e64 v[178:179], v[40:41], -v[48:49]
	v_add_f64_e32 v[162:163], v[162:163], v[182:183]
	v_mul_f64_e32 v[144:145], s[14:15], v[76:77]
	v_fma_f64 v[136:137], v[186:187], s[16:17], v[138:139]
	v_mul_f64_e32 v[138:139], s[20:21], v[2:3]
	v_fma_f64 v[142:143], v[172:173], s[16:17], v[142:143]
	v_add_f64_e64 v[172:173], v[58:59], -v[46:47]
	v_add_f64_e64 v[186:187], v[50:51], -v[42:43]
	v_add_f64_e32 v[158:159], v[158:159], v[178:179]
	v_add_f64_e32 v[178:179], v[242:243], v[254:255]
	v_fma_f64 v[144:145], v[78:79], s[16:17], v[144:145]
	v_mul_f64_e32 v[78:79], s[18:19], v[78:79]
	v_add_f64_e32 v[132:133], v[172:173], v[186:187]
	s_delay_alu instid0(VALU_DEP_2) | instskip(SKIP_4) | instid1(VALU_DEP_4)
	v_fma_f64 v[146:147], v[76:77], s[16:17], v[78:79]
	v_fma_f64 v[76:77], v[150:151], s[18:19], v[164:165]
	;; [unrolled: 1-line block ×4, first 2 shown]
	v_add_f64_e32 v[150:151], v[46:47], v[42:43]
	v_fma_f64 v[76:77], v[156:157], s[2:3], v[76:77]
	s_delay_alu instid0(VALU_DEP_4) | instskip(NEXT) | instid1(VALU_DEP_4)
	v_fma_f64 v[164:165], v[156:157], s[10:11], v[164:165]
	v_fma_f64 v[78:79], v[148:149], s[10:11], v[78:79]
	s_delay_alu instid0(VALU_DEP_4)
	v_fma_f64 v[150:151], v[150:151], -0.5, v[54:55]
	v_add_f64_e64 v[156:157], v[56:57], -v[48:49]
	v_fma_f64 v[188:189], v[170:171], s[16:17], v[76:77]
	v_fma_f64 v[170:171], v[170:171], s[16:17], v[164:165]
	;; [unrolled: 1-line block ×4, first 2 shown]
	v_add_f64_e32 v[152:153], v[58:59], v[50:51]
	v_add_f64_e32 v[76:77], v[188:189], v[144:145]
	v_add_f64_e64 v[144:145], v[188:189], -v[144:145]
	v_fma_f64 v[164:165], v[148:149], s[2:3], v[164:165]
	v_fma_f64 v[148:149], v[136:137], s[2:3], -v[138:139]
	v_mul_f64_e32 v[136:137], s[20:21], v[136:137]
	v_fma_f64 v[152:153], v[152:153], -0.5, v[54:55]
	v_add_f64_e32 v[54:55], v[54:55], v[46:47]
	v_add_f64_e32 v[78:79], v[190:191], v[146:147]
	v_add_f64_e64 v[146:147], v[190:191], -v[146:147]
	v_fma_f64 v[180:181], v[168:169], s[16:17], v[164:165]
	v_mul_f64_e32 v[164:165], s[16:17], v[154:155]
	v_fma_f64 v[2:3], v[2:3], s[10:11], -v[136:137]
	v_add_f64_e32 v[136:137], v[140:141], v[148:149]
	v_add_f64_e64 v[140:141], v[140:141], -v[148:149]
	v_add_f64_e32 v[148:149], v[44:45], v[40:41]
	v_add_f64_e32 v[54:55], v[54:55], v[58:59]
	v_fma_f64 v[168:169], v[174:175], s[14:15], -v[164:165]
	v_add_f64_e32 v[138:139], v[142:143], v[2:3]
	v_add_f64_e64 v[142:143], v[142:143], -v[2:3]
	v_add_f64_e32 v[2:3], v[56:57], v[48:49]
	v_mul_f64_e32 v[164:165], s[16:17], v[174:175]
	v_fma_f64 v[148:149], v[148:149], -0.5, v[52:53]
	v_add_f64_e64 v[174:175], v[46:47], -v[42:43]
	v_add_f64_e32 v[46:47], v[54:55], v[50:51]
	v_fma_f64 v[2:3], v[2:3], -0.5, v[52:53]
	v_add_f64_e32 v[52:53], v[52:53], v[44:45]
	v_fma_f64 v[154:155], v[154:155], s[18:19], -v[164:165]
	v_add_f64_e32 v[164:165], v[170:171], v[168:169]
	v_add_f64_e64 v[168:169], v[170:171], -v[168:169]
	v_add_f64_e32 v[190:191], v[46:47], v[42:43]
	v_add_f64_e32 v[42:43], v[214:215], v[228:229]
	v_add_f64_e64 v[46:47], v[214:215], -v[228:229]
	v_add_f64_e32 v[52:53], v[52:53], v[56:57]
	v_add_f64_e32 v[166:167], v[180:181], v[154:155]
	v_add_f64_e64 v[170:171], v[180:181], -v[154:155]
	v_add_f64_e64 v[180:181], v[48:49], -v[40:41]
	;; [unrolled: 1-line block ×3, first 2 shown]
	v_fma_f64 v[50:51], v[92:93], s[18:19], v[102:103]
	v_add_f64_e32 v[44:45], v[52:53], v[48:49]
	v_fma_f64 v[48:49], v[96:97], s[14:15], v[100:101]
	s_delay_alu instid0(VALU_DEP_3) | instskip(NEXT) | instid1(VALU_DEP_3)
	v_fma_f64 v[50:51], v[88:89], s[10:11], v[50:51]
	v_add_f64_e32 v[188:189], v[44:45], v[40:41]
	s_delay_alu instid0(VALU_DEP_3) | instskip(SKIP_3) | instid1(VALU_DEP_4)
	v_fma_f64 v[48:49], v[90:91], s[2:3], v[48:49]
	v_add_f64_e32 v[40:41], v[208:209], v[230:231]
	v_add_f64_e64 v[44:45], v[208:209], -v[230:231]
	v_fma_f64 v[50:51], v[194:195], s[16:17], v[50:51]
	v_fma_f64 v[48:49], v[192:193], s[16:17], v[48:49]
	s_delay_alu instid0(VALU_DEP_1) | instskip(SKIP_1) | instid1(VALU_DEP_2)
	v_mul_f64_e32 v[52:53], s[20:21], v[48:49]
	v_mul_f64_e32 v[48:49], s[10:11], v[48:49]
	v_fma_f64 v[52:53], v[50:51], s[2:3], v[52:53]
	s_delay_alu instid0(VALU_DEP_2) | instskip(SKIP_2) | instid1(VALU_DEP_2)
	v_fma_f64 v[54:55], v[50:51], s[20:21], v[48:49]
	v_fma_f64 v[48:49], v[116:117], s[14:15], v[120:121]
	;; [unrolled: 1-line block ×4, first 2 shown]
	s_delay_alu instid0(VALU_DEP_2) | instskip(NEXT) | instid1(VALU_DEP_2)
	v_fma_f64 v[50:51], v[112:113], s[10:11], v[50:51]
	v_fma_f64 v[56:57], v[114:115], s[16:17], v[48:49]
	s_delay_alu instid0(VALU_DEP_2) | instskip(NEXT) | instid1(VALU_DEP_2)
	v_fma_f64 v[58:59], v[130:131], s[16:17], v[50:51]
	v_add_f64_e32 v[48:49], v[56:57], v[52:53]
	v_add_f64_e64 v[52:53], v[56:57], -v[52:53]
	v_fma_f64 v[56:57], v[88:89], s[14:15], v[198:199]
	s_delay_alu instid0(VALU_DEP_4) | instskip(SKIP_2) | instid1(VALU_DEP_4)
	v_add_f64_e32 v[50:51], v[58:59], v[54:55]
	v_add_f64_e64 v[54:55], v[58:59], -v[54:55]
	v_fma_f64 v[58:59], v[90:91], s[18:19], v[196:197]
	v_fma_f64 v[56:57], v[92:93], s[10:11], v[56:57]
	s_delay_alu instid0(VALU_DEP_2) | instskip(NEXT) | instid1(VALU_DEP_2)
	v_fma_f64 v[58:59], v[96:97], s[2:3], v[58:59]
	v_fma_f64 v[56:57], v[94:95], s[16:17], v[56:57]
	s_delay_alu instid0(VALU_DEP_2) | instskip(NEXT) | instid1(VALU_DEP_2)
	v_fma_f64 v[58:59], v[98:99], s[16:17], v[58:59]
	v_mul_f64_e32 v[84:85], s[14:15], v[56:57]
	s_delay_alu instid0(VALU_DEP_1) | instskip(SKIP_1) | instid1(VALU_DEP_1)
	v_fma_f64 v[84:85], v[58:59], s[16:17], v[84:85]
	v_mul_f64_e32 v[58:59], s[18:19], v[58:59]
	v_fma_f64 v[86:87], v[56:57], s[16:17], v[58:59]
	v_fma_f64 v[56:57], v[110:111], s[18:19], v[124:125]
	;; [unrolled: 1-line block ×3, first 2 shown]
	s_delay_alu instid0(VALU_DEP_2) | instskip(NEXT) | instid1(VALU_DEP_2)
	v_fma_f64 v[56:57], v[116:117], s[2:3], v[56:57]
	v_fma_f64 v[58:59], v[108:109], s[10:11], v[58:59]
	s_delay_alu instid0(VALU_DEP_2) | instskip(NEXT) | instid1(VALU_DEP_2)
	v_fma_f64 v[118:119], v[104:105], s[16:17], v[56:57]
	v_fma_f64 v[128:129], v[106:107], s[16:17], v[58:59]
	s_delay_alu instid0(VALU_DEP_2) | instskip(SKIP_2) | instid1(VALU_DEP_4)
	v_add_f64_e32 v[56:57], v[118:119], v[84:85]
	v_add_f64_e64 v[84:85], v[118:119], -v[84:85]
	v_fma_f64 v[118:119], v[90:91], s[14:15], v[196:197]
	v_add_f64_e32 v[58:59], v[128:129], v[86:87]
	v_add_f64_e64 v[86:87], v[128:129], -v[86:87]
	v_add_f64_e32 v[128:129], v[238:239], v[252:253]
	s_delay_alu instid0(VALU_DEP_4) | instskip(NEXT) | instid1(VALU_DEP_1)
	v_fma_f64 v[118:119], v[96:97], s[10:11], v[118:119]
	v_fma_f64 v[98:99], v[98:99], s[16:17], v[118:119]
	;; [unrolled: 1-line block ×3, first 2 shown]
	s_delay_alu instid0(VALU_DEP_1) | instskip(SKIP_2) | instid1(VALU_DEP_3)
	v_fma_f64 v[118:119], v[92:93], s[2:3], v[118:119]
	v_fma_f64 v[92:93], v[92:93], s[14:15], v[102:103]
	v_add_f64_e64 v[102:103], v[200:201], -v[190:191]
	v_fma_f64 v[94:95], v[94:95], s[16:17], v[118:119]
	v_fma_f64 v[118:119], v[110:111], s[14:15], v[124:125]
	s_delay_alu instid0(VALU_DEP_4) | instskip(NEXT) | instid1(VALU_DEP_2)
	v_fma_f64 v[88:89], v[88:89], s[2:3], v[92:93]
	v_fma_f64 v[118:119], v[116:117], s[10:11], v[118:119]
	s_delay_alu instid0(VALU_DEP_2) | instskip(NEXT) | instid1(VALU_DEP_2)
	v_fma_f64 v[88:89], v[194:195], s[16:17], v[88:89]
	v_fma_f64 v[118:119], v[104:105], s[16:17], v[118:119]
	;; [unrolled: 1-line block ×3, first 2 shown]
	s_delay_alu instid0(VALU_DEP_1) | instskip(NEXT) | instid1(VALU_DEP_1)
	v_fma_f64 v[104:105], v[108:109], s[2:3], v[104:105]
	v_fma_f64 v[126:127], v[106:107], s[16:17], v[104:105]
	v_mul_f64_e32 v[104:105], s[16:17], v[98:99]
	s_delay_alu instid0(VALU_DEP_1) | instskip(SKIP_1) | instid1(VALU_DEP_2)
	v_fma_f64 v[124:125], v[94:95], s[14:15], -v[104:105]
	v_mul_f64_e32 v[94:95], s[16:17], v[94:95]
	v_add_f64_e32 v[104:105], v[118:119], v[124:125]
	s_delay_alu instid0(VALU_DEP_2) | instskip(SKIP_3) | instid1(VALU_DEP_4)
	v_fma_f64 v[94:95], v[98:99], s[18:19], -v[94:95]
	v_fma_f64 v[98:99], v[108:109], s[14:15], v[122:123]
	v_fma_f64 v[108:109], v[174:175], s[14:15], v[2:3]
	v_add_f64_e64 v[124:125], v[118:119], -v[124:125]
	v_add_f64_e32 v[106:107], v[126:127], v[94:95]
	v_add_f64_e64 v[126:127], v[126:127], -v[94:95]
	v_fma_f64 v[94:95], v[96:97], s[18:19], v[100:101]
	v_fma_f64 v[96:97], v[116:117], s[18:19], v[120:121]
	;; [unrolled: 1-line block ×3, first 2 shown]
	v_add_f64_e64 v[100:101], v[184:185], -v[188:189]
	s_delay_alu instid0(VALU_DEP_4) | instskip(NEXT) | instid1(VALU_DEP_4)
	v_fma_f64 v[90:91], v[90:91], s[10:11], v[94:95]
	v_fma_f64 v[92:93], v[110:111], s[10:11], v[96:97]
	;; [unrolled: 1-line block ×8, first 2 shown]
	v_mul_f64_e32 v[112:113], s[20:21], v[108:109]
	v_mul_f64_e32 v[108:109], s[10:11], v[108:109]
	v_fma_f64 v[94:95], v[130:131], s[16:17], v[94:95]
	v_add_f64_e32 v[130:131], v[160:161], v[180:181]
	v_mul_f64_e32 v[96:97], s[20:21], v[90:91]
	v_fma_f64 v[110:111], v[162:163], s[16:17], v[110:111]
	s_delay_alu instid0(VALU_DEP_2) | instskip(SKIP_1) | instid1(VALU_DEP_3)
	v_fma_f64 v[96:97], v[88:89], s[2:3], -v[96:97]
	v_mul_f64_e32 v[88:89], s[20:21], v[88:89]
	v_fma_f64 v[114:115], v[110:111], s[20:21], v[108:109]
	v_fma_f64 v[108:109], v[234:235], s[14:15], v[80:81]
	;; [unrolled: 1-line block ×5, first 2 shown]
	v_fma_f64 v[98:99], v[90:91], s[10:11], -v[88:89]
	v_add_f64_e32 v[88:89], v[92:93], v[96:97]
	v_add_f64_e64 v[92:93], v[92:93], -v[96:97]
	v_add_f64_e32 v[96:97], v[184:185], v[188:189]
	v_add_f64_e32 v[184:185], v[236:237], v[250:251]
	v_fma_f64 v[108:109], v[246:247], s[2:3], v[108:109]
	v_fma_f64 v[110:111], v[248:249], s[10:11], v[110:111]
	;; [unrolled: 1-line block ×3, first 2 shown]
	v_add_f64_e32 v[90:91], v[94:95], v[98:99]
	v_add_f64_e64 v[94:95], v[94:95], -v[98:99]
	v_add_f64_e32 v[98:99], v[200:201], v[190:191]
	v_fma_f64 v[116:117], v[184:185], s[16:17], v[108:109]
	v_fma_f64 v[118:119], v[178:179], s[16:17], v[110:111]
	s_delay_alu instid0(VALU_DEP_2) | instskip(SKIP_2) | instid1(VALU_DEP_4)
	v_add_f64_e32 v[108:109], v[116:117], v[112:113]
	v_add_f64_e64 v[112:113], v[116:117], -v[112:113]
	v_fma_f64 v[116:117], v[156:157], s[14:15], v[150:151]
	v_add_f64_e32 v[110:111], v[118:119], v[114:115]
	v_add_f64_e64 v[114:115], v[118:119], -v[114:115]
	v_fma_f64 v[118:119], v[154:155], s[18:19], v[148:149]
	s_delay_alu instid0(VALU_DEP_4) | instskip(NEXT) | instid1(VALU_DEP_2)
	v_fma_f64 v[116:117], v[176:177], s[10:11], v[116:117]
	v_fma_f64 v[118:119], v[174:175], s[2:3], v[118:119]
	s_delay_alu instid0(VALU_DEP_2) | instskip(NEXT) | instid1(VALU_DEP_2)
	v_fma_f64 v[116:117], v[132:133], s[16:17], v[116:117]
	v_fma_f64 v[118:119], v[130:131], s[16:17], v[118:119]
	s_delay_alu instid0(VALU_DEP_2) | instskip(NEXT) | instid1(VALU_DEP_1)
	v_mul_f64_e32 v[120:121], s[14:15], v[116:117]
	v_fma_f64 v[120:121], v[118:119], s[16:17], v[120:121]
	v_mul_f64_e32 v[118:119], s[18:19], v[118:119]
	s_delay_alu instid0(VALU_DEP_1) | instskip(SKIP_2) | instid1(VALU_DEP_2)
	v_fma_f64 v[122:123], v[116:117], s[16:17], v[118:119]
	v_fma_f64 v[116:117], v[246:247], s[18:19], v[224:225]
	;; [unrolled: 1-line block ×4, first 2 shown]
	s_delay_alu instid0(VALU_DEP_2) | instskip(NEXT) | instid1(VALU_DEP_2)
	v_fma_f64 v[118:119], v[240:241], s[10:11], v[118:119]
	v_fma_f64 v[134:135], v[128:129], s[16:17], v[116:117]
	s_delay_alu instid0(VALU_DEP_2) | instskip(NEXT) | instid1(VALU_DEP_2)
	v_fma_f64 v[160:161], v[0:1], s[16:17], v[118:119]
	v_add_f64_e32 v[116:117], v[134:135], v[120:121]
	v_add_f64_e64 v[120:121], v[134:135], -v[120:121]
	v_fma_f64 v[134:135], v[246:247], s[14:15], v[224:225]
	s_delay_alu instid0(VALU_DEP_4) | instskip(SKIP_1) | instid1(VALU_DEP_3)
	v_add_f64_e32 v[118:119], v[160:161], v[122:123]
	v_add_f64_e64 v[122:123], v[160:161], -v[122:123]
	v_fma_f64 v[134:135], v[234:235], s[10:11], v[134:135]
	s_delay_alu instid0(VALU_DEP_1) | instskip(SKIP_1) | instid1(VALU_DEP_1)
	v_fma_f64 v[134:135], v[128:129], s[16:17], v[134:135]
	v_fma_f64 v[128:129], v[154:155], s[14:15], v[148:149]
	;; [unrolled: 1-line block ×3, first 2 shown]
	s_delay_alu instid0(VALU_DEP_1) | instskip(SKIP_2) | instid1(VALU_DEP_2)
	v_fma_f64 v[128:129], v[130:131], s[16:17], v[128:129]
	v_fma_f64 v[130:131], v[156:157], s[18:19], v[150:151]
	;; [unrolled: 1-line block ×4, first 2 shown]
	s_delay_alu instid0(VALU_DEP_1) | instskip(SKIP_1) | instid1(VALU_DEP_1)
	v_fma_f64 v[130:131], v[132:133], s[16:17], v[130:131]
	v_fma_f64 v[132:133], v[248:249], s[18:19], v[232:233]
	;; [unrolled: 1-line block ×3, first 2 shown]
	s_delay_alu instid0(VALU_DEP_1) | instskip(SKIP_1) | instid1(VALU_DEP_1)
	v_fma_f64 v[0:1], v[0:1], s[16:17], v[132:133]
	v_mul_f64_e32 v[132:133], s[16:17], v[128:129]
	v_fma_f64 v[132:133], v[130:131], s[14:15], -v[132:133]
	v_mul_f64_e32 v[130:131], s[16:17], v[130:131]
	s_delay_alu instid0(VALU_DEP_1) | instskip(NEXT) | instid1(VALU_DEP_3)
	v_fma_f64 v[148:149], v[128:129], s[18:19], -v[130:131]
	v_add_f64_e32 v[128:129], v[134:135], v[132:133]
	v_add_f64_e64 v[132:133], v[134:135], -v[132:133]
	s_delay_alu instid0(VALU_DEP_3)
	v_add_f64_e32 v[130:131], v[0:1], v[148:149]
	v_add_f64_e64 v[134:135], v[0:1], -v[148:149]
	v_fma_f64 v[0:1], v[174:175], s[18:19], v[2:3]
	v_fma_f64 v[2:3], v[234:235], s[18:19], v[80:81]
	;; [unrolled: 1-line block ×3, first 2 shown]
	scratch_load_b32 v152, off, off         ; 4-byte Folded Reload
	global_wb scope:SCOPE_SE
	s_wait_loadcnt 0x0
	s_wait_storecnt 0x0
	s_wait_kmcnt 0x0
	s_barrier_signal -1
	s_barrier_wait -1
	global_inv scope:SCOPE_SE
	v_fma_f64 v[0:1], v[154:155], s[10:11], v[0:1]
	v_fma_f64 v[2:3], v[246:247], s[10:11], v[2:3]
	v_fma_f64 v[80:81], v[156:157], s[2:3], v[80:81]
	s_delay_alu instid0(VALU_DEP_3) | instskip(NEXT) | instid1(VALU_DEP_3)
	v_fma_f64 v[0:1], v[158:159], s[16:17], v[0:1]
	v_fma_f64 v[2:3], v[184:185], s[16:17], v[2:3]
	s_delay_alu instid0(VALU_DEP_3) | instskip(NEXT) | instid1(VALU_DEP_3)
	v_fma_f64 v[80:81], v[162:163], s[16:17], v[80:81]
	v_mul_f64_e32 v[82:83], s[20:21], v[0:1]
	s_delay_alu instid0(VALU_DEP_1) | instskip(SKIP_1) | instid1(VALU_DEP_1)
	v_fma_f64 v[148:149], v[80:81], s[2:3], -v[82:83]
	v_mul_f64_e32 v[80:81], s[20:21], v[80:81]
	v_fma_f64 v[0:1], v[0:1], s[10:11], -v[80:81]
	s_delay_alu instid0(VALU_DEP_3) | instskip(SKIP_2) | instid1(VALU_DEP_4)
	v_add_f64_e32 v[80:81], v[2:3], v[148:149]
	v_add_f64_e64 v[148:149], v[2:3], -v[148:149]
	v_add_f64_e32 v[2:3], v[8:9], v[36:37]
	v_add_f64_e32 v[82:83], v[150:151], v[0:1]
	v_add_f64_e64 v[150:151], v[150:151], -v[0:1]
	s_delay_alu instid0(VALU_DEP_3) | instskip(SKIP_3) | instid1(VALU_DEP_3)
	v_fma_f64 v[2:3], v[2:3], -0.5, v[202:203]
	v_mul_lo_u16 v0, v152, 10
	v_add_co_u32 v210, s22, v152, 60
	v_add_co_u32 v188, null, 0x78, v152
	v_and_b32_e32 v0, 0xffff, v0
	v_add_co_u32 v189, null, 0xb4, v152
	s_delay_alu instid0(VALU_DEP_2)
	v_lshlrev_b32_e32 v0, 4, v0
	ds_store_b128 v0, v[60:63]
	ds_store_b128 v0, v[68:71] offset:16
	ds_store_b128 v0, v[76:79] offset:32
	;; [unrolled: 1-line block ×8, first 2 shown]
	scratch_store_b32 off, v0, off offset:572 ; 4-byte Folded Spill
	ds_store_b128 v0, v[140:143] offset:144
	v_mul_u32_u24_e32 v0, 10, v210
	v_add_f64_e64 v[62:63], v[18:19], -v[10:11]
	v_add_f64_e64 v[64:65], v[26:27], -v[38:39]
	;; [unrolled: 1-line block ×4, first 2 shown]
	v_lshlrev_b32_e32 v60, 4, v0
	v_add_f64_e32 v[0:1], v[16:17], v[24:25]
	ds_store_b128 v60, v[40:43]
	ds_store_b128 v60, v[48:51] offset:16
	ds_store_b128 v60, v[56:59] offset:32
	;; [unrolled: 1-line block ×4, first 2 shown]
	v_add_f64_e64 v[40:41], v[10:11], -v[38:39]
	v_add_f64_e32 v[42:43], v[10:11], v[38:39]
	ds_store_b128 v60, v[44:47] offset:80
	ds_store_b128 v60, v[52:55] offset:96
	v_add_f64_e32 v[44:45], v[18:19], v[26:27]
	v_add_f64_e64 v[46:47], v[18:19], -v[26:27]
	v_add_f64_e64 v[48:49], v[8:9], -v[16:17]
	;; [unrolled: 1-line block ×4, first 2 shown]
	v_mul_u32_u24_e32 v56, 10, v188
	ds_store_b128 v60, v[84:87] offset:112
	ds_store_b128 v60, v[124:127] offset:128
	scratch_store_b32 off, v60, off offset:576 ; 4-byte Folded Spill
	ds_store_b128 v60, v[92:95] offset:144
	v_lshlrev_b32_e32 v217, 4, v56
	v_add_f64_e64 v[56:57], v[8:9], -v[36:37]
	v_add_f64_e64 v[58:59], v[16:17], -v[8:9]
	;; [unrolled: 1-line block ×5, first 2 shown]
	v_add_f64_e32 v[76:77], v[6:7], v[34:35]
	v_add_f64_e64 v[78:79], v[4:5], -v[32:33]
	v_add_f64_e64 v[86:87], v[12:13], -v[20:21]
	;; [unrolled: 1-line block ×3, first 2 shown]
	ds_store_b128 v217, v[80:83] offset:64
	ds_store_b128 v217, v[100:103] offset:80
	ds_store_b128 v217, v[96:99]
	ds_store_b128 v217, v[108:111] offset:16
	ds_store_b128 v217, v[116:119] offset:32
	;; [unrolled: 1-line block ×3, first 2 shown]
	v_add_f64_e32 v[62:63], v[62:63], v[64:65]
	v_add_f64_e64 v[64:65], v[38:39], -v[26:27]
	v_add_f64_e32 v[66:67], v[66:67], v[68:69]
	v_fma_f64 v[0:1], v[0:1], -0.5, v[202:203]
	ds_store_b128 v217, v[112:115] offset:96
	v_fma_f64 v[42:43], v[42:43], -0.5, v[204:205]
	v_fma_f64 v[44:45], v[44:45], -0.5, v[204:205]
	v_add_f64_e32 v[48:49], v[48:49], v[50:51]
	v_fma_f64 v[50:51], v[46:47], s[14:15], v[2:3]
	v_fma_f64 v[2:3], v[46:47], s[18:19], v[2:3]
	v_add_f64_e32 v[58:59], v[58:59], v[60:61]
	v_add_f64_e64 v[60:61], v[10:11], -v[18:19]
	v_fma_f64 v[76:77], v[76:77], -0.5, v[30:31]
	v_fma_f64 v[54:55], v[40:41], s[14:15], v[0:1]
	v_fma_f64 v[0:1], v[40:41], s[18:19], v[0:1]
	;; [unrolled: 1-line block ×6, first 2 shown]
	v_add_f64_e32 v[60:61], v[60:61], v[64:65]
	v_add_f64_e32 v[64:65], v[4:5], v[32:33]
	v_fma_f64 v[88:89], v[86:87], s[14:15], v[76:77]
	v_fma_f64 v[76:77], v[86:87], s[18:19], v[76:77]
	;; [unrolled: 1-line block ×9, first 2 shown]
	v_add_f64_e64 v[52:53], v[6:7], -v[34:35]
	v_fma_f64 v[64:65], v[64:65], -0.5, v[28:29]
	v_fma_f64 v[88:89], v[78:79], s[10:11], v[88:89]
	v_fma_f64 v[76:77], v[78:79], s[2:3], v[76:77]
	;; [unrolled: 1-line block ×6, first 2 shown]
	v_add_f64_e32 v[56:57], v[12:13], v[20:21]
	v_fma_f64 v[94:95], v[60:61], s[16:17], v[40:41]
	v_fma_f64 v[72:73], v[70:71], s[18:19], v[64:65]
	;; [unrolled: 1-line block ×4, first 2 shown]
	v_fma_f64 v[56:57], v[56:57], -0.5, v[28:29]
	s_delay_alu instid0(VALU_DEP_4) | instskip(NEXT) | instid1(VALU_DEP_2)
	v_fma_f64 v[72:73], v[52:53], s[2:3], v[72:73]
	v_fma_f64 v[68:69], v[52:53], s[14:15], v[56:57]
	;; [unrolled: 1-line block ×4, first 2 shown]
	v_add_f64_e64 v[64:65], v[6:7], -v[14:15]
	s_delay_alu instid0(VALU_DEP_4) | instskip(NEXT) | instid1(VALU_DEP_4)
	v_fma_f64 v[68:69], v[70:71], s[2:3], v[68:69]
	v_fma_f64 v[56:57], v[70:71], s[10:11], v[56:57]
	v_add_f64_e64 v[70:71], v[12:13], -v[4:5]
	s_delay_alu instid0(VALU_DEP_3) | instskip(NEXT) | instid1(VALU_DEP_3)
	v_fma_f64 v[40:41], v[66:67], s[16:17], v[68:69]
	v_fma_f64 v[48:49], v[66:67], s[16:17], v[56:57]
	s_delay_alu instid0(VALU_DEP_3) | instskip(SKIP_1) | instid1(VALU_DEP_2)
	v_add_f64_e32 v[70:71], v[70:71], v[74:75]
	v_add_f64_e64 v[74:75], v[34:35], -v[22:23]
	v_fma_f64 v[42:43], v[70:71], s[16:17], v[72:73]
	s_delay_alu instid0(VALU_DEP_2) | instskip(SKIP_1) | instid1(VALU_DEP_1)
	v_add_f64_e32 v[64:65], v[64:65], v[74:75]
	v_add_f64_e32 v[74:75], v[14:15], v[22:23]
	v_fma_f64 v[74:75], v[74:75], -0.5, v[30:31]
	s_delay_alu instid0(VALU_DEP_1)
	v_fma_f64 v[84:85], v[78:79], s[18:19], v[74:75]
	v_fma_f64 v[74:75], v[78:79], s[14:15], v[74:75]
	;; [unrolled: 1-line block ×4, first 2 shown]
	v_mul_f64_e32 v[44:45], s[20:21], v[54:55]
	v_mul_f64_e32 v[54:55], s[10:11], v[54:55]
	v_fma_f64 v[84:85], v[86:87], s[10:11], v[84:85]
	v_fma_f64 v[74:75], v[86:87], s[2:3], v[74:75]
	v_add_f64_e64 v[86:87], v[14:15], -v[6:7]
	v_fma_f64 v[44:45], v[50:51], s[2:3], v[44:45]
	v_fma_f64 v[58:59], v[50:51], s[20:21], v[54:55]
	s_delay_alu instid0(VALU_DEP_3)
	v_add_f64_e32 v[86:87], v[86:87], v[90:91]
	v_fma_f64 v[90:91], v[62:63], s[16:17], v[46:47]
	v_fma_f64 v[46:47], v[70:71], s[16:17], v[52:53]
	;; [unrolled: 1-line block ×5, first 2 shown]
	v_mul_f64_e32 v[50:51], s[14:15], v[90:91]
	v_fma_f64 v[60:61], v[86:87], s[16:17], v[76:77]
	s_delay_alu instid0(VALU_DEP_2) | instskip(SKIP_1) | instid1(VALU_DEP_2)
	v_fma_f64 v[50:51], v[2:3], s[16:17], v[50:51]
	v_mul_f64_e32 v[2:3], s[18:19], v[2:3]
	v_add_f64_e64 v[74:75], v[42:43], -v[50:51]
	s_delay_alu instid0(VALU_DEP_2) | instskip(SKIP_1) | instid1(VALU_DEP_2)
	v_fma_f64 v[66:67], v[90:91], s[16:17], v[2:3]
	v_mul_f64_e32 v[2:3], s[16:17], v[78:79]
	v_add_f64_e64 v[76:77], v[56:57], -v[66:67]
	s_delay_alu instid0(VALU_DEP_2) | instskip(SKIP_1) | instid1(VALU_DEP_2)
	v_fma_f64 v[54:55], v[92:93], s[14:15], -v[2:3]
	v_mul_f64_e32 v[2:3], s[16:17], v[92:93]
	v_add_f64_e64 v[72:73], v[46:47], -v[54:55]
	s_delay_alu instid0(VALU_DEP_2) | instskip(SKIP_1) | instid1(VALU_DEP_1)
	v_fma_f64 v[68:69], v[78:79], s[18:19], -v[2:3]
	v_mul_f64_e32 v[2:3], s[20:21], v[0:1]
	v_fma_f64 v[64:65], v[94:95], s[2:3], -v[2:3]
	v_mul_f64_e32 v[2:3], s[20:21], v[94:95]
	s_delay_alu instid0(VALU_DEP_2) | instskip(NEXT) | instid1(VALU_DEP_2)
	v_add_f64_e64 v[78:79], v[48:49], -v[64:65]
	v_fma_f64 v[70:71], v[0:1], s[10:11], -v[2:3]
	v_add_f64_e64 v[0:1], v[40:41], -v[44:45]
	v_add_f64_e64 v[2:3], v[52:53], -v[58:59]
	s_delay_alu instid0(VALU_DEP_3)
	v_add_f64_e64 v[80:81], v[62:63], -v[70:71]
	scratch_store_b128 off, v[74:77], off offset:44 ; 16-byte Folded Spill
	v_add_f64_e64 v[74:75], v[60:61], -v[68:69]
	scratch_store_b128 off, v[0:3], off offset:12 ; 16-byte Folded Spill
	v_add_co_ci_u32_e64 v0, null, 0, 0, s22
	v_mul_u32_u24_e32 v0, 10, v189
	s_clause 0x2
	scratch_store_b32 off, v0, off offset:1940
	scratch_store_b128 off, v[78:81], off offset:60
	scratch_store_b128 off, v[72:75], off offset:28
	ds_store_b128 v217, v[120:123] offset:112
	ds_store_b128 v217, v[132:135] offset:128
	;; [unrolled: 1-line block ×3, first 2 shown]
	s_and_saveexec_b32 s2, vcc_lo
	s_cbranch_execz .LBB0_7
; %bb.6:
	v_add_f64_e32 v[0:1], v[30:31], v[6:7]
	v_add_f64_e32 v[2:3], v[204:205], v[10:11]
	;; [unrolled: 1-line block ×16, first 2 shown]
	s_delay_alu instid0(VALU_DEP_4) | instskip(NEXT) | instid1(VALU_DEP_4)
	v_add_f64_e32 v[20:21], v[0:1], v[34:35]
	v_add_f64_e32 v[22:23], v[2:3], v[38:39]
	s_delay_alu instid0(VALU_DEP_4) | instskip(NEXT) | instid1(VALU_DEP_4)
	v_add_f64_e32 v[24:25], v[4:5], v[32:33]
	v_add_f64_e32 v[26:27], v[6:7], v[36:37]
	;; [unrolled: 1-line block ×7, first 2 shown]
	v_add_f64_e64 v[22:23], v[20:21], -v[22:23]
	v_add_f64_e32 v[16:17], v[24:25], v[26:27]
	v_add_f64_e64 v[20:21], v[24:25], -v[26:27]
	scratch_load_b128 v[25:28], off, off offset:12 ; 16-byte Folded Reload
	v_mul_u32_u24_e32 v24, 10, v189
	s_delay_alu instid0(VALU_DEP_1)
	v_lshlrev_b32_e32 v24, 4, v24
	s_wait_loadcnt 0x0
	ds_store_b128 v24, v[25:28] offset:96
	scratch_load_b128 v[25:28], off, off offset:44 ; 16-byte Folded Reload
	s_wait_loadcnt 0x0
	ds_store_b128 v24, v[25:28] offset:112
	ds_store_b128 v24, v[8:11] offset:32
	;; [unrolled: 1-line block ×3, first 2 shown]
	ds_store_b128 v24, v[16:19]
	ds_store_b128 v24, v[12:15] offset:16
	ds_store_b128 v24, v[0:3] offset:64
	;; [unrolled: 1-line block ×3, first 2 shown]
	scratch_load_b128 v[0:3], off, off offset:28 ; 16-byte Folded Reload
	s_wait_loadcnt 0x0
	ds_store_b128 v24, v[0:3] offset:128
	scratch_load_b128 v[0:3], off, off offset:60 ; 16-byte Folded Reload
	s_wait_loadcnt 0x0
	ds_store_b128 v24, v[0:3] offset:144
.LBB0_7:
	s_wait_alu 0xfffe
	s_or_b32 exec_lo, exec_lo, s2
	scratch_load_b32 v215, off, off         ; 4-byte Folded Reload
	global_wb scope:SCOPE_SE
	s_wait_storecnt 0x0
	s_wait_loadcnt_dscnt 0x0
	s_barrier_signal -1
	s_barrier_wait -1
	global_inv scope:SCOPE_SE
	v_and_b32_e32 v2, 0xff, v210
	v_and_b32_e32 v190, 0xff, v188
	;; [unrolled: 1-line block ×3, first 2 shown]
	s_mov_b32 s10, 0xe8584caa
	s_mov_b32 s11, 0x3febb67a
	v_mul_lo_u16 v2, 0xcd, v2
	s_mov_b32 s3, 0xbfebb67a
	s_delay_alu instid0(VALU_DEP_1) | instskip(NEXT) | instid1(VALU_DEP_1)
	v_lshrrev_b16 v204, 11, v2
	v_mul_lo_u16 v2, v204, 10
	s_delay_alu instid0(VALU_DEP_1) | instskip(NEXT) | instid1(VALU_DEP_1)
	v_sub_nc_u16 v2, v210, v2
	v_and_b32_e32 v205, 0xff, v2
	v_and_b32_e32 v0, 0xff, v215
	v_add_nc_u32_e32 v191, 0xf0, v215
	v_add_nc_u32_e32 v193, 0x12c, v215
	s_delay_alu instid0(VALU_DEP_3) | instskip(NEXT) | instid1(VALU_DEP_3)
	v_mul_lo_u16 v0, 0xcd, v0
	v_and_b32_e32 v192, 0xffff, v191
	s_delay_alu instid0(VALU_DEP_3) | instskip(NEXT) | instid1(VALU_DEP_3)
	v_and_b32_e32 v194, 0xffff, v193
	v_lshrrev_b16 v206, 11, v0
	s_delay_alu instid0(VALU_DEP_1) | instskip(SKIP_1) | instid1(VALU_DEP_2)
	v_mul_lo_u16 v0, v206, 10
	v_and_b32_e32 v206, 0xffff, v206
	v_sub_nc_u16 v0, v215, v0
	s_delay_alu instid0(VALU_DEP_2) | instskip(NEXT) | instid1(VALU_DEP_2)
	v_mul_u32_u24_e32 v206, 60, v206
	v_and_b32_e32 v207, 0xff, v0
	s_delay_alu instid0(VALU_DEP_1) | instskip(NEXT) | instid1(VALU_DEP_3)
	v_mad_co_u64_u32 v[0:1], null, 0x50, v207, s[0:1]
	v_add_lshl_u32 v218, v206, v207, 4
	s_clause 0x4
	global_load_b128 v[72:75], v[0:1], off
	global_load_b128 v[86:89], v[0:1], off offset:16
	global_load_b128 v[82:85], v[0:1], off offset:32
	;; [unrolled: 1-line block ×4, first 2 shown]
	v_mad_co_u64_u32 v[0:1], null, 0x50, v205, s[0:1]
	s_clause 0x4
	global_load_b128 v[54:57], v[0:1], off
	global_load_b128 v[60:63], v[0:1], off offset:16
	global_load_b128 v[68:71], v[0:1], off offset:32
	;; [unrolled: 1-line block ×4, first 2 shown]
	v_mul_lo_u16 v0, 0xcd, v190
	s_delay_alu instid0(VALU_DEP_1) | instskip(NEXT) | instid1(VALU_DEP_1)
	v_lshrrev_b16 v196, 11, v0
	v_mul_lo_u16 v0, v196, 10
	s_delay_alu instid0(VALU_DEP_1) | instskip(NEXT) | instid1(VALU_DEP_1)
	v_sub_nc_u16 v0, v188, v0
	v_and_b32_e32 v197, 0xff, v0
	s_delay_alu instid0(VALU_DEP_1)
	v_mad_co_u64_u32 v[28:29], null, 0x50, v197, s[0:1]
	global_load_b128 v[120:123], v[28:29], off
	ds_load_b128 v[0:3], v216 offset:5760
	ds_load_b128 v[4:7], v216 offset:11520
	;; [unrolled: 1-line block ×7, first 2 shown]
	s_wait_loadcnt_dscnt 0xa06
	v_mul_f64_e32 v[30:31], v[2:3], v[74:75]
	v_mul_f64_e32 v[32:33], v[0:1], v[74:75]
	s_wait_loadcnt_dscnt 0x905
	v_mul_f64_e32 v[34:35], v[6:7], v[88:89]
	v_mul_f64_e32 v[36:37], v[4:5], v[88:89]
	s_clause 0x1
	scratch_store_b128 off, v[72:75], off offset:692
	scratch_store_b128 off, v[86:89], off offset:676
	s_wait_loadcnt_dscnt 0x804
	v_mul_f64_e32 v[38:39], v[10:11], v[84:85]
	v_mul_f64_e32 v[40:41], v[8:9], v[84:85]
	scratch_store_b128 off, v[82:85], off offset:660 ; 16-byte Folded Spill
	s_wait_loadcnt 0x7
	scratch_store_b128 off, v[76:79], off offset:644 ; 16-byte Folded Spill
	s_wait_loadcnt 0x6
	;; [unrolled: 2-line block ×4, first 2 shown]
	s_clause 0x2
	scratch_store_b128 off, v[92:95], off offset:740
	scratch_store_b128 off, v[60:63], off offset:596
	;; [unrolled: 1-line block ×3, first 2 shown]
	s_wait_loadcnt 0x1
	scratch_store_b128 off, v[98:101], off offset:708 ; 16-byte Folded Spill
	v_fma_f64 v[66:67], v[0:1], v[72:73], -v[30:31]
	v_fma_f64 v[74:75], v[2:3], v[72:73], v[32:33]
	ds_load_b128 v[0:3], v216 offset:18240
	s_wait_dscnt 0x4
	v_mul_f64_e32 v[42:43], v[14:15], v[78:79]
	v_mul_f64_e32 v[44:45], v[12:13], v[78:79]
	v_fma_f64 v[80:81], v[4:5], v[86:87], -v[34:35]
	v_fma_f64 v[88:89], v[6:7], v[86:87], v[36:37]
	ds_load_b128 v[4:7], v216 offset:24000
	s_wait_dscnt 0x4
	v_mul_f64_e32 v[46:47], v[18:19], v[52:53]
	s_wait_loadcnt 0x0
	scratch_store_b128 off, v[120:123], off offset:724 ; 16-byte Folded Spill
	v_mul_f64_e32 v[48:49], v[16:17], v[52:53]
	v_fma_f64 v[104:105], v[8:9], v[82:83], -v[38:39]
	v_fma_f64 v[96:97], v[10:11], v[82:83], v[40:41]
	ds_load_b128 v[8:11], v216 offset:29760
	v_fma_f64 v[106:107], v[12:13], v[76:77], -v[42:43]
	v_fma_f64 v[114:115], v[14:15], v[76:77], v[44:45]
	s_wait_dscnt 0x2
	v_mul_f64_e32 v[12:13], v[2:3], v[70:71]
	v_mul_f64_e32 v[14:15], v[0:1], v[70:71]
	v_fma_f64 v[118:119], v[16:17], v[50:51], -v[46:47]
	s_wait_dscnt 0x1
	v_mul_f64_e32 v[16:17], v[6:7], v[94:95]
	v_fma_f64 v[116:117], v[18:19], v[50:51], v[48:49]
	v_mul_f64_e32 v[18:19], v[4:5], v[94:95]
	v_fma_f64 v[82:83], v[0:1], v[68:69], -v[12:13]
	v_fma_f64 v[72:73], v[2:3], v[68:69], v[14:15]
	ds_load_b128 v[0:3], v216 offset:7680
	s_wait_dscnt 0x1
	v_mul_f64_e32 v[12:13], v[10:11], v[100:101]
	v_fma_f64 v[90:91], v[4:5], v[92:93], -v[16:17]
	v_mul_f64_e32 v[14:15], v[8:9], v[100:101]
	v_fma_f64 v[92:93], v[6:7], v[92:93], v[18:19]
	v_mul_f64_e32 v[30:31], v[22:23], v[56:57]
	v_mul_f64_e32 v[32:33], v[20:21], v[56:57]
	s_wait_dscnt 0x0
	v_mul_f64_e32 v[6:7], v[0:1], v[122:123]
	v_mul_f64_e32 v[4:5], v[2:3], v[122:123]
	v_fma_f64 v[110:111], v[8:9], v[98:99], -v[12:13]
	v_fma_f64 v[98:99], v[10:11], v[98:99], v[14:15]
	v_fma_f64 v[52:53], v[20:21], v[54:55], -v[30:31]
	v_fma_f64 v[56:57], v[22:23], v[54:55], v[32:33]
	v_fma_f64 v[50:51], v[2:3], v[120:121], v[6:7]
	global_load_b128 v[6:9], v[28:29], off offset:16
	v_fma_f64 v[48:49], v[0:1], v[120:121], -v[4:5]
	ds_load_b128 v[0:3], v216 offset:13440
	v_mul_f64_e32 v[34:35], v[26:27], v[62:63]
	v_mul_f64_e32 v[36:37], v[24:25], v[62:63]
	s_delay_alu instid0(VALU_DEP_2) | instskip(NEXT) | instid1(VALU_DEP_2)
	v_fma_f64 v[58:59], v[24:25], v[60:61], -v[34:35]
	v_fma_f64 v[62:63], v[26:27], v[60:61], v[36:37]
	s_wait_loadcnt_dscnt 0x0
	v_mul_f64_e32 v[4:5], v[2:3], v[8:9]
	scratch_store_b128 off, v[6:9], off offset:756 ; 16-byte Folded Spill
	v_fma_f64 v[54:55], v[0:1], v[6:7], -v[4:5]
	v_mul_f64_e32 v[0:1], v[0:1], v[8:9]
	s_delay_alu instid0(VALU_DEP_1)
	v_fma_f64 v[60:61], v[2:3], v[6:7], v[0:1]
	global_load_b128 v[6:9], v[28:29], off offset:32
	ds_load_b128 v[0:3], v216 offset:19200
	s_wait_loadcnt_dscnt 0x0
	v_mul_f64_e32 v[4:5], v[2:3], v[8:9]
	scratch_store_b128 off, v[6:9], off offset:772 ; 16-byte Folded Spill
	v_fma_f64 v[76:77], v[0:1], v[6:7], -v[4:5]
	v_mul_f64_e32 v[0:1], v[0:1], v[8:9]
	s_delay_alu instid0(VALU_DEP_1)
	v_fma_f64 v[70:71], v[2:3], v[6:7], v[0:1]
	global_load_b128 v[6:9], v[28:29], off offset:48
	ds_load_b128 v[0:3], v216 offset:24960
	;; [unrolled: 9-line block ×3, first 2 shown]
	s_wait_loadcnt_dscnt 0x0
	v_mul_f64_e32 v[4:5], v[2:3], v[8:9]
	scratch_store_b128 off, v[6:9], off offset:804 ; 16-byte Folded Spill
	v_fma_f64 v[112:113], v[0:1], v[6:7], -v[4:5]
	v_mul_f64_e32 v[0:1], v[0:1], v[8:9]
	s_delay_alu instid0(VALU_DEP_1) | instskip(SKIP_1) | instid1(VALU_DEP_1)
	v_fma_f64 v[102:103], v[2:3], v[6:7], v[0:1]
	v_mul_lo_u16 v0, 0xcd, v195
	v_lshrrev_b16 v198, 11, v0
	s_delay_alu instid0(VALU_DEP_1) | instskip(NEXT) | instid1(VALU_DEP_1)
	v_mul_lo_u16 v0, v198, 10
	v_sub_nc_u16 v0, v189, v0
	s_delay_alu instid0(VALU_DEP_1)
	v_and_b32_e32 v199, 0xff, v0
	ds_load_b128 v[0:3], v216 offset:8640
	v_mad_co_u64_u32 v[4:5], null, 0x50, v199, s[0:1]
	global_load_b128 v[8:11], v[4:5], off
	s_wait_loadcnt_dscnt 0x0
	v_mul_f64_e32 v[6:7], v[2:3], v[10:11]
	scratch_store_b128 off, v[8:11], off offset:820 ; 16-byte Folded Spill
	v_fma_f64 v[64:65], v[0:1], v[8:9], -v[6:7]
	v_mul_f64_e32 v[0:1], v[0:1], v[10:11]
	s_delay_alu instid0(VALU_DEP_1)
	v_fma_f64 v[68:69], v[2:3], v[8:9], v[0:1]
	global_load_b128 v[8:11], v[4:5], off offset:16
	ds_load_b128 v[0:3], v216 offset:14400
	s_wait_loadcnt_dscnt 0x0
	v_mul_f64_e32 v[6:7], v[2:3], v[10:11]
	scratch_store_b128 off, v[8:11], off offset:836 ; 16-byte Folded Spill
	v_fma_f64 v[78:79], v[0:1], v[8:9], -v[6:7]
	v_mul_f64_e32 v[0:1], v[0:1], v[10:11]
	s_delay_alu instid0(VALU_DEP_1)
	v_fma_f64 v[86:87], v[2:3], v[8:9], v[0:1]
	global_load_b128 v[8:11], v[4:5], off offset:32
	ds_load_b128 v[0:3], v216 offset:20160
	;; [unrolled: 9-line block ×3, first 2 shown]
	s_wait_loadcnt_dscnt 0x0
	v_mul_f64_e32 v[6:7], v[2:3], v[10:11]
	scratch_store_b128 off, v[8:11], off offset:868 ; 16-byte Folded Spill
	v_fma_f64 v[120:121], v[0:1], v[8:9], -v[6:7]
	v_mul_f64_e32 v[0:1], v[0:1], v[10:11]
	s_delay_alu instid0(VALU_DEP_2) | instskip(NEXT) | instid1(VALU_DEP_2)
	v_add_f64_e32 v[16:17], v[78:79], v[120:121]
	v_fma_f64 v[122:123], v[2:3], v[8:9], v[0:1]
	global_load_b128 v[6:9], v[4:5], off offset:64
	ds_load_b128 v[0:3], v216 offset:31680
	s_wait_loadcnt_dscnt 0x0
	v_mul_f64_e32 v[4:5], v[2:3], v[8:9]
	scratch_store_b128 off, v[6:9], off offset:884 ; 16-byte Folded Spill
	v_fma_f64 v[130:131], v[0:1], v[6:7], -v[4:5]
	v_mul_f64_e32 v[0:1], v[0:1], v[8:9]
	s_delay_alu instid0(VALU_DEP_1) | instskip(SKIP_1) | instid1(VALU_DEP_1)
	v_fma_f64 v[128:129], v[2:3], v[6:7], v[0:1]
	v_mul_u32_u24_e32 v0, 0xcccd, v192
	v_lshrrev_b32_e32 v200, 19, v0
	s_delay_alu instid0(VALU_DEP_1) | instskip(NEXT) | instid1(VALU_DEP_1)
	v_mul_lo_u16 v0, v200, 10
	v_sub_nc_u16 v201, v191, v0
	s_delay_alu instid0(VALU_DEP_1) | instskip(NEXT) | instid1(VALU_DEP_1)
	v_mul_lo_u16 v0, 0x50, v201
	v_and_b32_e32 v0, 0xffff, v0
	s_delay_alu instid0(VALU_DEP_1)
	v_add_co_u32 v4, s2, s0, v0
	s_wait_alu 0xf1ff
	v_add_co_ci_u32_e64 v5, null, s1, 0, s2
	ds_load_b128 v[0:3], v216 offset:9600
	global_load_b128 v[8:11], v[4:5], off
	s_wait_loadcnt_dscnt 0x0
	v_mul_f64_e32 v[6:7], v[2:3], v[10:11]
	scratch_store_b128 off, v[8:11], off offset:900 ; 16-byte Folded Spill
	v_fma_f64 v[124:125], v[0:1], v[8:9], -v[6:7]
	v_mul_f64_e32 v[0:1], v[0:1], v[10:11]
	s_delay_alu instid0(VALU_DEP_1)
	v_fma_f64 v[126:127], v[2:3], v[8:9], v[0:1]
	global_load_b128 v[8:11], v[4:5], off offset:16
	ds_load_b128 v[0:3], v216 offset:15360
	s_wait_loadcnt_dscnt 0x0
	v_mul_f64_e32 v[6:7], v[2:3], v[10:11]
	scratch_store_b128 off, v[8:11], off offset:916 ; 16-byte Folded Spill
	v_fma_f64 v[132:133], v[0:1], v[8:9], -v[6:7]
	v_mul_f64_e32 v[0:1], v[0:1], v[10:11]
	s_delay_alu instid0(VALU_DEP_1)
	v_fma_f64 v[134:135], v[2:3], v[8:9], v[0:1]
	global_load_b128 v[8:11], v[4:5], off offset:32
	ds_load_b128 v[0:3], v216 offset:21120
	;; [unrolled: 9-line block ×3, first 2 shown]
	s_wait_loadcnt_dscnt 0x0
	v_mul_f64_e32 v[6:7], v[2:3], v[10:11]
	scratch_store_b128 off, v[8:11], off offset:948 ; 16-byte Folded Spill
	v_fma_f64 v[140:141], v[0:1], v[8:9], -v[6:7]
	v_mul_f64_e32 v[0:1], v[0:1], v[10:11]
	s_delay_alu instid0(VALU_DEP_2) | instskip(NEXT) | instid1(VALU_DEP_2)
	v_add_f64_e32 v[24:25], v[132:133], v[140:141]
	v_fma_f64 v[142:143], v[2:3], v[8:9], v[0:1]
	global_load_b128 v[6:9], v[4:5], off offset:64
	ds_load_b128 v[0:3], v216 offset:32640
	s_wait_loadcnt_dscnt 0x0
	v_mul_f64_e32 v[4:5], v[2:3], v[8:9]
	scratch_store_b128 off, v[6:9], off offset:964 ; 16-byte Folded Spill
	v_fma_f64 v[148:149], v[0:1], v[6:7], -v[4:5]
	v_mul_f64_e32 v[0:1], v[0:1], v[8:9]
	s_delay_alu instid0(VALU_DEP_1) | instskip(SKIP_1) | instid1(VALU_DEP_1)
	v_fma_f64 v[144:145], v[2:3], v[6:7], v[0:1]
	v_mul_u32_u24_e32 v0, 0xcccd, v194
	v_lshrrev_b32_e32 v202, 19, v0
	s_delay_alu instid0(VALU_DEP_1) | instskip(NEXT) | instid1(VALU_DEP_1)
	v_mul_lo_u16 v0, v202, 10
	v_sub_nc_u16 v203, v193, v0
	s_delay_alu instid0(VALU_DEP_1) | instskip(NEXT) | instid1(VALU_DEP_1)
	v_mul_lo_u16 v0, 0x50, v203
	v_and_b32_e32 v0, 0xffff, v0
	s_delay_alu instid0(VALU_DEP_1)
	v_add_co_u32 v4, s2, s0, v0
	s_wait_alu 0xf1ff
	v_add_co_ci_u32_e64 v5, null, s1, 0, s2
	ds_load_b128 v[0:3], v216 offset:10560
	s_wait_alu 0xfffe
	s_mov_b32 s2, s10
	global_load_b128 v[8:11], v[4:5], off
	s_wait_loadcnt_dscnt 0x0
	v_mul_f64_e32 v[6:7], v[2:3], v[10:11]
	scratch_store_b128 off, v[8:11], off offset:980 ; 16-byte Folded Spill
	v_fma_f64 v[146:147], v[0:1], v[8:9], -v[6:7]
	v_mul_f64_e32 v[0:1], v[0:1], v[10:11]
	s_delay_alu instid0(VALU_DEP_1)
	v_fma_f64 v[150:151], v[2:3], v[8:9], v[0:1]
	global_load_b128 v[8:11], v[4:5], off offset:16
	ds_load_b128 v[0:3], v216 offset:16320
	s_wait_loadcnt_dscnt 0x0
	v_mul_f64_e32 v[6:7], v[2:3], v[10:11]
	scratch_store_b128 off, v[8:11], off offset:996 ; 16-byte Folded Spill
	v_fma_f64 v[152:153], v[0:1], v[8:9], -v[6:7]
	v_mul_f64_e32 v[0:1], v[0:1], v[10:11]
	s_delay_alu instid0(VALU_DEP_1)
	v_fma_f64 v[154:155], v[2:3], v[8:9], v[0:1]
	global_load_b128 v[8:11], v[4:5], off offset:32
	ds_load_b128 v[0:3], v216 offset:22080
	;; [unrolled: 9-line block ×3, first 2 shown]
	s_wait_loadcnt_dscnt 0x0
	v_mul_f64_e32 v[6:7], v[2:3], v[10:11]
	scratch_store_b128 off, v[8:11], off offset:1028 ; 16-byte Folded Spill
	v_fma_f64 v[160:161], v[0:1], v[8:9], -v[6:7]
	v_mul_f64_e32 v[0:1], v[0:1], v[10:11]
	s_delay_alu instid0(VALU_DEP_2) | instskip(NEXT) | instid1(VALU_DEP_2)
	v_add_f64_e32 v[32:33], v[152:153], v[160:161]
	v_fma_f64 v[162:163], v[2:3], v[8:9], v[0:1]
	global_load_b128 v[6:9], v[4:5], off offset:64
	ds_load_b128 v[0:3], v216 offset:33600
	s_wait_loadcnt_dscnt 0x0
	v_mul_f64_e32 v[4:5], v[2:3], v[8:9]
	scratch_store_b128 off, v[6:9], off offset:1044 ; 16-byte Folded Spill
	v_fma_f64 v[166:167], v[0:1], v[6:7], -v[4:5]
	v_mul_f64_e32 v[0:1], v[0:1], v[8:9]
	v_add_f64_e32 v[4:5], v[80:81], v[106:107]
	v_add_f64_e32 v[8:9], v[54:55], v[84:85]
	s_delay_alu instid0(VALU_DEP_3)
	v_fma_f64 v[164:165], v[2:3], v[6:7], v[0:1]
	ds_load_b128 v[0:3], v216
	v_add_f64_e32 v[6:7], v[74:75], v[96:97]
	s_wait_dscnt 0x0
	v_fma_f64 v[168:169], v[4:5], -0.5, v[0:1]
	v_add_f64_e32 v[4:5], v[88:89], v[114:115]
	v_add_f64_e32 v[0:1], v[0:1], v[80:81]
	s_delay_alu instid0(VALU_DEP_4) | instskip(NEXT) | instid1(VALU_DEP_3)
	v_add_f64_e32 v[6:7], v[6:7], v[116:117]
	v_fma_f64 v[170:171], v[4:5], -0.5, v[2:3]
	v_add_f64_e32 v[4:5], v[66:67], v[104:105]
	v_add_f64_e32 v[2:3], v[2:3], v[88:89]
	;; [unrolled: 1-line block ×3, first 2 shown]
	s_delay_alu instid0(VALU_DEP_3) | instskip(NEXT) | instid1(VALU_DEP_3)
	v_add_f64_e32 v[4:5], v[4:5], v[118:119]
	v_add_f64_e32 v[2:3], v[2:3], v[114:115]
	s_delay_alu instid0(VALU_DEP_2) | instskip(SKIP_2) | instid1(VALU_DEP_4)
	v_add_f64_e32 v[40:41], v[0:1], v[4:5]
	v_add_f64_e64 v[44:45], v[0:1], -v[4:5]
	v_add_f64_e32 v[4:5], v[58:59], v[90:91]
	v_add_f64_e32 v[42:43], v[2:3], v[6:7]
	v_add_f64_e64 v[46:47], v[2:3], -v[6:7]
	ds_load_b128 v[0:3], v216 offset:960
	v_add_f64_e32 v[6:7], v[56:57], v[72:73]
	s_wait_dscnt 0x0
	v_fma_f64 v[172:173], v[4:5], -0.5, v[0:1]
	v_add_f64_e32 v[4:5], v[62:63], v[92:93]
	v_add_f64_e32 v[0:1], v[0:1], v[58:59]
	v_add_f64_e64 v[58:59], v[58:59], -v[90:91]
	v_add_f64_e32 v[6:7], v[6:7], v[98:99]
	s_delay_alu instid0(VALU_DEP_4) | instskip(SKIP_3) | instid1(VALU_DEP_3)
	v_fma_f64 v[174:175], v[4:5], -0.5, v[2:3]
	v_add_f64_e32 v[2:3], v[2:3], v[62:63]
	v_add_f64_e32 v[4:5], v[52:53], v[82:83]
	;; [unrolled: 1-line block ×4, first 2 shown]
	s_delay_alu instid0(VALU_DEP_3) | instskip(NEXT) | instid1(VALU_DEP_2)
	v_add_f64_e32 v[4:5], v[4:5], v[110:111]
	v_add_f64_e32 v[38:39], v[2:3], v[6:7]
	s_delay_alu instid0(VALU_DEP_2)
	v_add_f64_e32 v[36:37], v[0:1], v[4:5]
	v_add_f64_e64 v[0:1], v[0:1], -v[4:5]
	v_add_f64_e64 v[2:3], v[2:3], -v[6:7]
	ds_load_b128 v[4:7], v216 offset:1920
	s_wait_dscnt 0x0
	v_fma_f64 v[176:177], v[8:9], -0.5, v[4:5]
	v_add_f64_e32 v[8:9], v[60:61], v[94:95]
	v_add_f64_e32 v[4:5], v[4:5], v[54:55]
	s_delay_alu instid0(VALU_DEP_2) | instskip(NEXT) | instid1(VALU_DEP_2)
	v_fma_f64 v[178:179], v[8:9], -0.5, v[6:7]
	v_add_f64_e32 v[8:9], v[4:5], v[84:85]
	v_add_f64_e32 v[4:5], v[48:49], v[76:77]
	;; [unrolled: 1-line block ×3, first 2 shown]
	v_add_f64_e64 v[60:61], v[60:61], -v[94:95]
	s_delay_alu instid0(VALU_DEP_3) | instskip(SKIP_1) | instid1(VALU_DEP_4)
	v_add_f64_e32 v[12:13], v[4:5], v[112:113]
	v_add_f64_e32 v[4:5], v[50:51], v[70:71]
	;; [unrolled: 1-line block ×3, first 2 shown]
	v_add_f64_e64 v[94:95], v[132:133], -v[140:141]
	s_delay_alu instid0(VALU_DEP_3) | instskip(SKIP_2) | instid1(VALU_DEP_3)
	v_add_f64_e32 v[14:15], v[4:5], v[102:103]
	v_add_f64_e32 v[4:5], v[8:9], v[12:13]
	v_add_f64_e64 v[8:9], v[8:9], -v[12:13]
	v_add_f64_e32 v[6:7], v[10:11], v[14:15]
	v_add_f64_e64 v[10:11], v[10:11], -v[14:15]
	ds_load_b128 v[12:15], v216 offset:2880
	s_wait_dscnt 0x0
	v_fma_f64 v[180:181], v[16:17], -0.5, v[12:13]
	v_add_f64_e32 v[16:17], v[86:87], v[122:123]
	v_add_f64_e32 v[12:13], v[12:13], v[78:79]
	v_add_f64_e64 v[78:79], v[78:79], -v[120:121]
	s_delay_alu instid0(VALU_DEP_3) | instskip(NEXT) | instid1(VALU_DEP_3)
	v_fma_f64 v[182:183], v[16:17], -0.5, v[14:15]
	v_add_f64_e32 v[16:17], v[12:13], v[120:121]
	v_add_f64_e32 v[12:13], v[64:65], v[108:109]
	;; [unrolled: 1-line block ×3, first 2 shown]
	s_delay_alu instid0(VALU_DEP_2) | instskip(SKIP_1) | instid1(VALU_DEP_3)
	v_add_f64_e32 v[20:21], v[12:13], v[130:131]
	v_add_f64_e32 v[12:13], v[68:69], v[100:101]
	;; [unrolled: 1-line block ×3, first 2 shown]
	s_delay_alu instid0(VALU_DEP_2) | instskip(NEXT) | instid1(VALU_DEP_4)
	v_add_f64_e32 v[22:23], v[12:13], v[128:129]
	v_add_f64_e32 v[12:13], v[16:17], v[20:21]
	v_add_f64_e64 v[16:17], v[16:17], -v[20:21]
	s_delay_alu instid0(VALU_DEP_3)
	v_add_f64_e32 v[14:15], v[18:19], v[22:23]
	v_add_f64_e64 v[18:19], v[18:19], -v[22:23]
	ds_load_b128 v[20:23], v216 offset:3840
	s_wait_dscnt 0x0
	v_fma_f64 v[184:185], v[24:25], -0.5, v[20:21]
	v_add_f64_e32 v[24:25], v[134:135], v[142:143]
	v_add_f64_e32 v[20:21], v[20:21], v[132:133]
	s_delay_alu instid0(VALU_DEP_2) | instskip(NEXT) | instid1(VALU_DEP_2)
	v_fma_f64 v[186:187], v[24:25], -0.5, v[22:23]
	v_add_f64_e32 v[24:25], v[20:21], v[140:141]
	v_add_f64_e32 v[20:21], v[124:125], v[138:139]
	v_add_f64_e32 v[22:23], v[22:23], v[134:135]
	s_delay_alu instid0(VALU_DEP_2) | instskip(SKIP_1) | instid1(VALU_DEP_3)
	v_add_f64_e32 v[28:29], v[20:21], v[148:149]
	v_add_f64_e32 v[20:21], v[126:127], v[136:137]
	;; [unrolled: 1-line block ×3, first 2 shown]
	s_delay_alu instid0(VALU_DEP_2) | instskip(NEXT) | instid1(VALU_DEP_4)
	v_add_f64_e32 v[30:31], v[20:21], v[144:145]
	v_add_f64_e32 v[20:21], v[24:25], v[28:29]
	v_add_f64_e64 v[24:25], v[24:25], -v[28:29]
	s_delay_alu instid0(VALU_DEP_3)
	v_add_f64_e32 v[22:23], v[26:27], v[30:31]
	v_add_f64_e64 v[26:27], v[26:27], -v[30:31]
	ds_load_b128 v[28:31], v216 offset:4800
	global_wb scope:SCOPE_SE
	s_wait_storecnt_dscnt 0x0
	s_barrier_signal -1
	s_barrier_wait -1
	global_inv scope:SCOPE_SE
	ds_store_b128 v218, v[40:43]
	ds_store_b128 v218, v[44:47] offset:480
	v_add_f64_e32 v[44:45], v[96:97], v[116:117]
	v_add_f64_e32 v[40:41], v[104:105], v[118:119]
	v_add_f64_e64 v[42:43], v[104:105], -v[118:119]
	v_add_f64_e64 v[46:47], v[88:89], -v[114:115]
	v_fma_f64 v[224:225], v[32:33], -0.5, v[28:29]
	v_add_f64_e32 v[32:33], v[154:155], v[162:163]
	v_add_f64_e32 v[28:29], v[28:29], v[152:153]
	v_fma_f64 v[44:45], v[44:45], -0.5, v[74:75]
	v_add_f64_e64 v[74:75], v[80:81], -v[106:107]
	v_add_f64_e64 v[80:81], v[96:97], -v[116:117]
	v_fma_f64 v[40:41], v[40:41], -0.5, v[66:67]
	v_fma_f64 v[226:227], v[32:33], -0.5, v[30:31]
	v_add_f64_e32 v[32:33], v[28:29], v[160:161]
	v_add_f64_e32 v[28:29], v[146:147], v[158:159]
	;; [unrolled: 1-line block ×3, first 2 shown]
	s_wait_alu 0xfffe
	v_fma_f64 v[66:67], v[42:43], s[2:3], v[44:45]
	v_fma_f64 v[42:43], v[42:43], s[10:11], v[44:45]
	;; [unrolled: 1-line block ×5, first 2 shown]
	v_add_f64_e64 v[80:81], v[100:101], -v[128:129]
	v_add_f64_e32 v[208:209], v[28:29], v[166:167]
	v_add_f64_e32 v[28:29], v[150:151], v[156:157]
	;; [unrolled: 1-line block ×3, first 2 shown]
	v_mul_f64_e32 v[96:97], s[10:11], v[66:67]
	v_mul_f64_e32 v[44:45], -0.5, v[40:41]
	s_delay_alu instid0(VALU_DEP_4)
	v_add_f64_e32 v[211:212], v[28:29], v[164:165]
	v_add_f64_e32 v[28:29], v[32:33], v[208:209]
	v_add_f64_e64 v[32:33], v[32:33], -v[208:209]
	v_fma_f64 v[96:97], v[88:89], 0.5, v[96:97]
	v_mul_f64_e32 v[88:89], s[2:3], v[88:89]
	v_fma_f64 v[44:45], v[42:43], s[10:11], v[44:45]
	v_mul_f64_e32 v[42:43], -0.5, v[42:43]
	v_add_f64_e32 v[30:31], v[34:35], v[211:212]
	v_add_f64_e64 v[34:35], v[34:35], -v[211:212]
	v_fma_f64 v[66:67], v[66:67], 0.5, v[88:89]
	v_fma_f64 v[88:89], v[46:47], s[10:11], v[168:169]
	v_fma_f64 v[46:47], v[46:47], s[2:3], v[168:169]
	;; [unrolled: 1-line block ×3, first 2 shown]
	v_add_f64_e32 v[42:43], v[72:73], v[98:99]
	v_add_f64_e32 v[116:117], v[104:105], v[66:67]
	v_add_f64_e64 v[208:209], v[104:105], -v[66:67]
	v_fma_f64 v[66:67], v[74:75], s[10:11], v[170:171]
	v_add_f64_e32 v[168:169], v[46:47], v[44:45]
	v_add_f64_e64 v[211:212], v[46:47], -v[44:45]
	v_add_f64_e64 v[44:45], v[82:83], -v[110:111]
	v_fma_f64 v[46:47], v[42:43], -0.5, v[56:57]
	v_add_f64_e64 v[56:57], v[62:63], -v[92:93]
	v_add_f64_e64 v[62:63], v[72:73], -v[98:99]
	v_fma_f64 v[72:73], v[58:59], s[2:3], v[174:175]
	v_fma_f64 v[58:59], v[58:59], s[10:11], v[174:175]
	v_add_f64_e32 v[114:115], v[88:89], v[96:97]
	v_add_f64_e64 v[206:207], v[88:89], -v[96:97]
	v_add_f64_e64 v[88:89], v[138:139], -v[148:149]
	;; [unrolled: 1-line block ×5, first 2 shown]
	v_add_f64_e32 v[170:171], v[66:67], v[40:41]
	v_add_f64_e64 v[213:214], v[66:67], -v[40:41]
	v_add_f64_e32 v[40:41], v[82:83], v[110:111]
	v_add_f64_e64 v[110:111], v[152:153], -v[160:161]
	ds_store_b128 v218, v[114:117] offset:160
	ds_store_b128 v218, v[168:171] offset:320
	;; [unrolled: 1-line block ×3, first 2 shown]
	scratch_store_b32 off, v218, off offset:1060 ; 4-byte Folded Spill
	ds_store_b128 v218, v[211:214] offset:800
	v_fma_f64 v[52:53], v[40:41], -0.5, v[52:53]
	v_fma_f64 v[40:41], v[44:45], s[2:3], v[46:47]
	v_fma_f64 v[44:45], v[44:45], s[10:11], v[46:47]
	s_delay_alu instid0(VALU_DEP_3) | instskip(SKIP_1) | instid1(VALU_DEP_4)
	v_fma_f64 v[42:43], v[62:63], s[10:11], v[52:53]
	v_fma_f64 v[52:53], v[62:63], s[2:3], v[52:53]
	v_mul_f64_e32 v[66:67], s[10:11], v[40:41]
	v_add_f64_e64 v[62:63], v[54:55], -v[84:85]
	s_delay_alu instid0(VALU_DEP_3) | instskip(NEXT) | instid1(VALU_DEP_3)
	v_mul_f64_e32 v[46:47], -0.5, v[52:53]
	v_fma_f64 v[66:67], v[42:43], 0.5, v[66:67]
	v_mul_f64_e32 v[42:43], s[2:3], v[42:43]
	s_delay_alu instid0(VALU_DEP_4) | instskip(NEXT) | instid1(VALU_DEP_4)
	v_fma_f64 v[74:75], v[62:63], s[2:3], v[178:179]
	v_fma_f64 v[46:47], v[44:45], s[10:11], v[46:47]
	v_mul_f64_e32 v[44:45], -0.5, v[44:45]
	s_delay_alu instid0(VALU_DEP_4) | instskip(SKIP_2) | instid1(VALU_DEP_4)
	v_fma_f64 v[42:43], v[40:41], 0.5, v[42:43]
	v_fma_f64 v[40:41], v[56:57], s[10:11], v[172:173]
	v_fma_f64 v[56:57], v[56:57], s[2:3], v[172:173]
	;; [unrolled: 1-line block ×3, first 2 shown]
	s_delay_alu instid0(VALU_DEP_4) | instskip(NEXT) | instid1(VALU_DEP_4)
	v_add_f64_e32 v[222:223], v[72:73], v[42:43]
	v_add_f64_e32 v[220:221], v[40:41], v[66:67]
	s_delay_alu instid0(VALU_DEP_4)
	v_add_f64_e32 v[172:173], v[56:57], v[46:47]
	v_add_f64_e64 v[44:45], v[56:57], -v[46:47]
	v_add_f64_e64 v[56:57], v[76:77], -v[112:113]
	;; [unrolled: 1-line block ×5, first 2 shown]
	v_add_f64_e32 v[174:175], v[58:59], v[52:53]
	v_add_f64_e64 v[46:47], v[58:59], -v[52:53]
	v_add_f64_e32 v[58:59], v[70:71], v[102:103]
	v_add_f64_e32 v[52:53], v[76:77], v[112:113]
	v_add_f64_e64 v[76:77], v[86:87], -v[122:123]
	v_fma_f64 v[86:87], v[78:79], s[2:3], v[182:183]
	v_fma_f64 v[102:103], v[94:95], s[2:3], v[186:187]
	v_add_f64_e64 v[112:113], v[156:157], -v[164:165]
	v_fma_f64 v[122:123], v[110:111], s[2:3], v[226:227]
	v_fma_f64 v[58:59], v[58:59], -0.5, v[50:51]
	v_fma_f64 v[70:71], v[52:53], -0.5, v[48:49]
	s_delay_alu instid0(VALU_DEP_2) | instskip(NEXT) | instid1(VALU_DEP_2)
	v_fma_f64 v[48:49], v[56:57], s[2:3], v[58:59]
	v_fma_f64 v[50:51], v[66:67], s[10:11], v[70:71]
	;; [unrolled: 1-line block ×5, first 2 shown]
	v_mul_f64_e32 v[52:53], s[10:11], v[48:49]
	s_delay_alu instid0(VALU_DEP_4) | instskip(NEXT) | instid1(VALU_DEP_2)
	v_mul_f64_e32 v[58:59], -0.5, v[66:67]
	v_fma_f64 v[72:73], v[50:51], 0.5, v[52:53]
	v_mul_f64_e32 v[50:51], s[2:3], v[50:51]
	s_delay_alu instid0(VALU_DEP_3) | instskip(SKIP_1) | instid1(VALU_DEP_3)
	v_fma_f64 v[58:59], v[56:57], s[10:11], v[58:59]
	v_mul_f64_e32 v[56:57], -0.5, v[56:57]
	v_fma_f64 v[50:51], v[48:49], 0.5, v[50:51]
	v_fma_f64 v[48:49], v[60:61], s[10:11], v[176:177]
	s_delay_alu instid0(VALU_DEP_3)
	v_fma_f64 v[66:67], v[66:67], s[2:3], v[56:57]
	v_add_f64_e32 v[60:61], v[70:71], v[58:59]
	v_add_f64_e64 v[56:57], v[70:71], -v[58:59]
	v_add_f64_e32 v[70:71], v[100:101], v[128:129]
	v_add_f64_e32 v[54:55], v[74:75], v[50:51]
	;; [unrolled: 1-line block ×3, first 2 shown]
	v_add_f64_e64 v[48:49], v[48:49], -v[72:73]
	v_fma_f64 v[72:73], v[62:63], s[10:11], v[178:179]
	v_add_f64_e64 v[50:51], v[74:75], -v[50:51]
	v_fma_f64 v[74:75], v[70:71], -0.5, v[68:69]
	s_delay_alu instid0(VALU_DEP_3) | instskip(SKIP_4) | instid1(VALU_DEP_3)
	v_add_f64_e32 v[62:63], v[72:73], v[66:67]
	v_add_f64_e64 v[58:59], v[72:73], -v[66:67]
	v_add_f64_e32 v[66:67], v[108:109], v[130:131]
	v_add_f64_e64 v[72:73], v[108:109], -v[130:131]
	v_add_f64_e64 v[108:109], v[154:155], -v[162:163]
	v_fma_f64 v[82:83], v[66:67], -0.5, v[64:65]
	s_delay_alu instid0(VALU_DEP_3) | instskip(SKIP_1) | instid1(VALU_DEP_3)
	v_fma_f64 v[64:65], v[72:73], s[2:3], v[74:75]
	v_fma_f64 v[72:73], v[72:73], s[10:11], v[74:75]
	;; [unrolled: 1-line block ×3, first 2 shown]
	s_delay_alu instid0(VALU_DEP_3) | instskip(SKIP_2) | instid1(VALU_DEP_3)
	v_mul_f64_e32 v[68:69], s[10:11], v[64:65]
	v_fma_f64 v[80:81], v[80:81], s[2:3], v[82:83]
	v_fma_f64 v[82:83], v[76:77], s[2:3], v[180:181]
	v_fma_f64 v[84:85], v[66:67], 0.5, v[68:69]
	v_mul_f64_e32 v[66:67], s[2:3], v[66:67]
	s_delay_alu instid0(VALU_DEP_4) | instskip(NEXT) | instid1(VALU_DEP_2)
	v_mul_f64_e32 v[74:75], -0.5, v[80:81]
	v_fma_f64 v[66:67], v[64:65], 0.5, v[66:67]
	v_fma_f64 v[64:65], v[76:77], s[10:11], v[180:181]
	s_delay_alu instid0(VALU_DEP_3) | instskip(SKIP_1) | instid1(VALU_DEP_4)
	v_fma_f64 v[74:75], v[72:73], s[10:11], v[74:75]
	v_mul_f64_e32 v[72:73], -0.5, v[72:73]
	v_add_f64_e32 v[70:71], v[86:87], v[66:67]
	s_delay_alu instid0(VALU_DEP_4)
	v_add_f64_e32 v[68:69], v[64:65], v[84:85]
	v_add_f64_e64 v[64:65], v[64:65], -v[84:85]
	v_fma_f64 v[84:85], v[78:79], s[10:11], v[182:183]
	v_fma_f64 v[80:81], v[80:81], s[2:3], v[72:73]
	v_add_f64_e32 v[76:77], v[82:83], v[74:75]
	v_add_f64_e64 v[72:73], v[82:83], -v[74:75]
	v_add_f64_e32 v[82:83], v[136:137], v[144:145]
	v_add_f64_e64 v[66:67], v[86:87], -v[66:67]
	;; [unrolled: 2-line block ×3, first 2 shown]
	v_add_f64_e32 v[80:81], v[138:139], v[148:149]
	v_fma_f64 v[90:91], v[82:83], -0.5, v[126:127]
	s_delay_alu instid0(VALU_DEP_2) | instskip(NEXT) | instid1(VALU_DEP_2)
	v_fma_f64 v[98:99], v[80:81], -0.5, v[124:125]
	v_fma_f64 v[80:81], v[88:89], s[2:3], v[90:91]
	v_fma_f64 v[88:89], v[88:89], s[10:11], v[90:91]
	s_delay_alu instid0(VALU_DEP_3) | instskip(NEXT) | instid1(VALU_DEP_3)
	v_fma_f64 v[82:83], v[96:97], s[10:11], v[98:99]
	v_mul_f64_e32 v[84:85], s[10:11], v[80:81]
	v_fma_f64 v[96:97], v[96:97], s[2:3], v[98:99]
	v_fma_f64 v[98:99], v[92:93], s[2:3], v[184:185]
	s_delay_alu instid0(VALU_DEP_3) | instskip(SKIP_1) | instid1(VALU_DEP_4)
	v_fma_f64 v[100:101], v[82:83], 0.5, v[84:85]
	v_mul_f64_e32 v[82:83], s[2:3], v[82:83]
	v_mul_f64_e32 v[90:91], -0.5, v[96:97]
	s_delay_alu instid0(VALU_DEP_2) | instskip(SKIP_1) | instid1(VALU_DEP_3)
	v_fma_f64 v[82:83], v[80:81], 0.5, v[82:83]
	v_fma_f64 v[80:81], v[92:93], s[10:11], v[184:185]
	v_fma_f64 v[90:91], v[88:89], s[10:11], v[90:91]
	v_mul_f64_e32 v[88:89], -0.5, v[88:89]
	s_delay_alu instid0(VALU_DEP_4) | instskip(NEXT) | instid1(VALU_DEP_4)
	v_add_f64_e32 v[86:87], v[102:103], v[82:83]
	v_add_f64_e32 v[84:85], v[80:81], v[100:101]
	v_add_f64_e64 v[80:81], v[80:81], -v[100:101]
	v_fma_f64 v[100:101], v[94:95], s[10:11], v[186:187]
	v_fma_f64 v[96:97], v[96:97], s[2:3], v[88:89]
	v_add_f64_e32 v[92:93], v[98:99], v[90:91]
	v_add_f64_e64 v[88:89], v[98:99], -v[90:91]
	v_add_f64_e32 v[98:99], v[156:157], v[164:165]
	v_add_f64_e64 v[82:83], v[102:103], -v[82:83]
	;; [unrolled: 2-line block ×3, first 2 shown]
	v_add_f64_e32 v[96:97], v[158:159], v[166:167]
	v_fma_f64 v[106:107], v[98:99], -0.5, v[150:151]
	s_delay_alu instid0(VALU_DEP_2) | instskip(NEXT) | instid1(VALU_DEP_2)
	v_fma_f64 v[118:119], v[96:97], -0.5, v[146:147]
	v_fma_f64 v[96:97], v[104:105], s[2:3], v[106:107]
	v_fma_f64 v[104:105], v[104:105], s[10:11], v[106:107]
	s_delay_alu instid0(VALU_DEP_3) | instskip(NEXT) | instid1(VALU_DEP_3)
	v_fma_f64 v[98:99], v[112:113], s[10:11], v[118:119]
	v_mul_f64_e32 v[100:101], s[10:11], v[96:97]
	v_fma_f64 v[112:113], v[112:113], s[2:3], v[118:119]
	v_fma_f64 v[118:119], v[108:109], s[2:3], v[224:225]
	s_delay_alu instid0(VALU_DEP_3) | instskip(SKIP_1) | instid1(VALU_DEP_4)
	v_fma_f64 v[120:121], v[98:99], 0.5, v[100:101]
	v_mul_f64_e32 v[98:99], s[2:3], v[98:99]
	v_mul_f64_e32 v[106:107], -0.5, v[112:113]
	s_delay_alu instid0(VALU_DEP_2) | instskip(SKIP_1) | instid1(VALU_DEP_3)
	v_fma_f64 v[98:99], v[96:97], 0.5, v[98:99]
	v_fma_f64 v[96:97], v[108:109], s[10:11], v[224:225]
	v_fma_f64 v[106:107], v[104:105], s[10:11], v[106:107]
	v_mul_f64_e32 v[104:105], -0.5, v[104:105]
	s_delay_alu instid0(VALU_DEP_4) | instskip(NEXT) | instid1(VALU_DEP_4)
	v_add_f64_e32 v[102:103], v[122:123], v[98:99]
	v_add_f64_e32 v[100:101], v[96:97], v[120:121]
	v_add_f64_e64 v[96:97], v[96:97], -v[120:121]
	v_fma_f64 v[120:121], v[110:111], s[10:11], v[226:227]
	v_fma_f64 v[112:113], v[112:113], s[2:3], v[104:105]
	v_add_f64_e32 v[108:109], v[118:119], v[106:107]
	v_add_f64_e64 v[104:105], v[118:119], -v[106:107]
	v_add_f64_e64 v[98:99], v[122:123], -v[98:99]
	s_delay_alu instid0(VALU_DEP_4) | instskip(SKIP_2) | instid1(VALU_DEP_1)
	v_add_f64_e32 v[110:111], v[120:121], v[112:113]
	v_add_f64_e64 v[106:107], v[120:121], -v[112:113]
	v_and_b32_e32 v112, 0xffff, v204
	v_mul_u32_u24_e32 v112, 60, v112
	s_delay_alu instid0(VALU_DEP_1)
	v_add_lshl_u32 v112, v112, v205, 4
	ds_store_b128 v112, v[36:39]
	ds_store_b128 v112, v[220:223] offset:160
	ds_store_b128 v112, v[172:175] offset:320
	;; [unrolled: 1-line block ×4, first 2 shown]
	v_and_b32_e32 v0, 0xffff, v196
	scratch_store_b32 off, v112, off offset:1064 ; 4-byte Folded Spill
	ds_store_b128 v112, v[44:47] offset:800
	v_mul_u32_u24_e32 v0, 60, v0
	s_delay_alu instid0(VALU_DEP_1)
	v_add_lshl_u32 v0, v0, v197, 4
	ds_store_b128 v0, v[4:7]
	ds_store_b128 v0, v[52:55] offset:160
	ds_store_b128 v0, v[60:63] offset:320
	;; [unrolled: 1-line block ×4, first 2 shown]
	scratch_store_b32 off, v0, off offset:1404 ; 4-byte Folded Spill
	ds_store_b128 v0, v[56:59] offset:800
	v_and_b32_e32 v0, 0xffff, v198
	s_delay_alu instid0(VALU_DEP_1) | instskip(NEXT) | instid1(VALU_DEP_1)
	v_mul_u32_u24_e32 v0, 60, v0
	v_add_lshl_u32 v0, v0, v199, 4
	ds_store_b128 v0, v[12:15]
	ds_store_b128 v0, v[68:71] offset:160
	ds_store_b128 v0, v[76:79] offset:320
	;; [unrolled: 1-line block ×4, first 2 shown]
	scratch_store_b32 off, v0, off offset:1396 ; 4-byte Folded Spill
	ds_store_b128 v0, v[72:75] offset:800
	v_mad_u16 v0, v200, 60, v201
	v_mad_co_u64_u32 v[68:69], null, 0x50, v215, s[0:1]
	s_delay_alu instid0(VALU_DEP_2) | instskip(NEXT) | instid1(VALU_DEP_1)
	v_and_b32_e32 v0, 0xffff, v0
	v_lshlrev_b32_e32 v0, 4, v0
	ds_store_b128 v0, v[20:23]
	ds_store_b128 v0, v[24:27] offset:480
	ds_store_b128 v0, v[84:87] offset:160
	;; [unrolled: 1-line block ×4, first 2 shown]
	scratch_store_b32 off, v0, off offset:1392 ; 4-byte Folded Spill
	ds_store_b128 v0, v[88:91] offset:800
	v_mad_u16 v0, v202, 60, v203
	s_delay_alu instid0(VALU_DEP_1) | instskip(NEXT) | instid1(VALU_DEP_1)
	v_and_b32_e32 v0, 0xffff, v0
	v_lshlrev_b32_e32 v0, 4, v0
	ds_store_b128 v0, v[28:31]
	ds_store_b128 v0, v[100:103] offset:160
	ds_store_b128 v0, v[108:111] offset:320
	;; [unrolled: 1-line block ×4, first 2 shown]
	scratch_store_b32 off, v0, off offset:1308 ; 4-byte Folded Spill
	ds_store_b128 v0, v[104:107] offset:800
	global_wb scope:SCOPE_SE
	s_wait_storecnt_dscnt 0x0
	s_barrier_signal -1
	s_barrier_wait -1
	global_inv scope:SCOPE_SE
	s_clause 0x2
	global_load_b128 v[0:3], v[68:69], off offset:800
	global_load_b128 v[16:19], v[68:69], off offset:816
	;; [unrolled: 1-line block ×3, first 2 shown]
	ds_load_b128 v[4:7], v216 offset:5760
	s_wait_loadcnt_dscnt 0x200
	v_mul_f64_e32 v[8:9], v[6:7], v[2:3]
	s_delay_alu instid0(VALU_DEP_1) | instskip(SKIP_1) | instid1(VALU_DEP_1)
	v_fma_f64 v[70:71], v[4:5], v[0:1], -v[8:9]
	v_mul_f64_e32 v[4:5], v[4:5], v[2:3]
	v_fma_f64 v[74:75], v[6:7], v[0:1], v[4:5]
	ds_load_b128 v[4:7], v216 offset:11520
	s_wait_loadcnt_dscnt 0x100
	v_mul_f64_e32 v[8:9], v[6:7], v[18:19]
	s_delay_alu instid0(VALU_DEP_1) | instskip(SKIP_1) | instid1(VALU_DEP_1)
	v_fma_f64 v[76:77], v[4:5], v[16:17], -v[8:9]
	v_mul_f64_e32 v[4:5], v[4:5], v[18:19]
	v_fma_f64 v[80:81], v[6:7], v[16:17], v[4:5]
	ds_load_b128 v[4:7], v216 offset:17280
	s_wait_loadcnt_dscnt 0x0
	v_mul_f64_e32 v[8:9], v[6:7], v[14:15]
	s_delay_alu instid0(VALU_DEP_1) | instskip(SKIP_2) | instid1(VALU_DEP_1)
	v_fma_f64 v[90:91], v[4:5], v[12:13], -v[8:9]
	global_load_b128 v[8:11], v[68:69], off offset:848
	v_mul_f64_e32 v[4:5], v[4:5], v[14:15]
	v_fma_f64 v[86:87], v[6:7], v[12:13], v[4:5]
	ds_load_b128 v[4:7], v216 offset:23040
	s_wait_loadcnt_dscnt 0x0
	v_mul_f64_e32 v[20:21], v[6:7], v[10:11]
	s_delay_alu instid0(VALU_DEP_1)
	v_fma_f64 v[94:95], v[4:5], v[8:9], -v[20:21]
	v_mul_f64_e32 v[4:5], v[4:5], v[10:11]
	ds_load_b128 v[20:23], v216 offset:28800
	v_fma_f64 v[98:99], v[6:7], v[8:9], v[4:5]
	global_load_b128 v[4:7], v[68:69], off offset:864
	s_wait_loadcnt_dscnt 0x0
	v_mul_f64_e32 v[24:25], v[22:23], v[6:7]
	s_delay_alu instid0(VALU_DEP_1) | instskip(SKIP_1) | instid1(VALU_DEP_1)
	v_fma_f64 v[106:107], v[20:21], v[4:5], -v[24:25]
	v_mul_f64_e32 v[20:21], v[20:21], v[6:7]
	v_fma_f64 v[102:103], v[22:23], v[4:5], v[20:21]
	ds_load_b128 v[20:23], v216 offset:6720
	s_wait_dscnt 0x0
	v_mul_f64_e32 v[24:25], v[22:23], v[2:3]
	s_delay_alu instid0(VALU_DEP_1) | instskip(SKIP_1) | instid1(VALU_DEP_1)
	v_fma_f64 v[72:73], v[20:21], v[0:1], -v[24:25]
	v_mul_f64_e32 v[20:21], v[20:21], v[2:3]
	v_fma_f64 v[78:79], v[22:23], v[0:1], v[20:21]
	ds_load_b128 v[20:23], v216 offset:12480
	s_wait_dscnt 0x0
	;; [unrolled: 7-line block ×5, first 2 shown]
	v_mul_f64_e32 v[24:25], v[22:23], v[6:7]
	s_delay_alu instid0(VALU_DEP_1) | instskip(SKIP_1) | instid1(VALU_DEP_1)
	v_fma_f64 v[120:121], v[20:21], v[4:5], -v[24:25]
	v_mul_f64_e32 v[20:21], v[20:21], v[6:7]
	v_fma_f64 v[118:119], v[22:23], v[4:5], v[20:21]
	v_mul_lo_u16 v20, 0x89, v190
	s_delay_alu instid0(VALU_DEP_1) | instskip(NEXT) | instid1(VALU_DEP_1)
	v_lshrrev_b16 v20, 13, v20
	v_mul_lo_u16 v20, v20, 60
	s_delay_alu instid0(VALU_DEP_1) | instskip(NEXT) | instid1(VALU_DEP_1)
	v_sub_nc_u16 v20, v188, v20
	v_and_b32_e32 v211, 0xff, v20
	ds_load_b128 v[20:23], v216 offset:7680
	v_mad_co_u64_u32 v[24:25], null, 0x50, v211, s[0:1]
	global_load_b128 v[28:31], v[24:25], off offset:800
	s_wait_loadcnt_dscnt 0x0
	v_mul_f64_e32 v[26:27], v[22:23], v[30:31]
	scratch_store_b128 off, v[28:31], off offset:1068 ; 16-byte Folded Spill
	v_fma_f64 v[104:105], v[20:21], v[28:29], -v[26:27]
	v_mul_f64_e32 v[20:21], v[20:21], v[30:31]
	s_delay_alu instid0(VALU_DEP_1)
	v_fma_f64 v[108:109], v[22:23], v[28:29], v[20:21]
	global_load_b128 v[28:31], v[24:25], off offset:816
	ds_load_b128 v[20:23], v216 offset:13440
	s_wait_loadcnt_dscnt 0x0
	v_mul_f64_e32 v[26:27], v[22:23], v[30:31]
	scratch_store_b128 off, v[28:31], off offset:1084 ; 16-byte Folded Spill
	v_fma_f64 v[110:111], v[20:21], v[28:29], -v[26:27]
	v_mul_f64_e32 v[20:21], v[20:21], v[30:31]
	s_delay_alu instid0(VALU_DEP_1)
	v_fma_f64 v[112:113], v[22:23], v[28:29], v[20:21]
	global_load_b128 v[28:31], v[24:25], off offset:832
	ds_load_b128 v[20:23], v216 offset:19200
	;; [unrolled: 9-line block ×4, first 2 shown]
	s_wait_loadcnt_dscnt 0x0
	v_mul_f64_e32 v[24:25], v[22:23], v[28:29]
	scratch_store_b128 off, v[26:29], off offset:1132 ; 16-byte Folded Spill
	v_fma_f64 v[128:129], v[20:21], v[26:27], -v[24:25]
	v_mul_f64_e32 v[20:21], v[20:21], v[28:29]
	s_delay_alu instid0(VALU_DEP_1) | instskip(SKIP_1) | instid1(VALU_DEP_1)
	v_fma_f64 v[126:127], v[22:23], v[26:27], v[20:21]
	v_mul_lo_u16 v20, 0x89, v195
	v_lshrrev_b16 v20, 13, v20
	s_delay_alu instid0(VALU_DEP_1) | instskip(NEXT) | instid1(VALU_DEP_1)
	v_mul_lo_u16 v20, v20, 60
	v_sub_nc_u16 v20, v189, v20
	s_delay_alu instid0(VALU_DEP_1)
	v_and_b32_e32 v212, 0xff, v20
	ds_load_b128 v[20:23], v216 offset:8640
	v_mad_co_u64_u32 v[24:25], null, 0x50, v212, s[0:1]
	global_load_b128 v[28:31], v[24:25], off offset:800
	s_wait_loadcnt_dscnt 0x0
	v_mul_f64_e32 v[26:27], v[22:23], v[30:31]
	scratch_store_b128 off, v[28:31], off offset:1148 ; 16-byte Folded Spill
	v_fma_f64 v[130:131], v[20:21], v[28:29], -v[26:27]
	v_mul_f64_e32 v[20:21], v[20:21], v[30:31]
	s_delay_alu instid0(VALU_DEP_1)
	v_fma_f64 v[132:133], v[22:23], v[28:29], v[20:21]
	global_load_b128 v[28:31], v[24:25], off offset:816
	ds_load_b128 v[20:23], v216 offset:14400
	s_wait_loadcnt_dscnt 0x0
	v_mul_f64_e32 v[26:27], v[22:23], v[30:31]
	scratch_store_b128 off, v[28:31], off offset:1164 ; 16-byte Folded Spill
	v_fma_f64 v[134:135], v[20:21], v[28:29], -v[26:27]
	v_mul_f64_e32 v[20:21], v[20:21], v[30:31]
	s_delay_alu instid0(VALU_DEP_1)
	v_fma_f64 v[136:137], v[22:23], v[28:29], v[20:21]
	global_load_b128 v[28:31], v[24:25], off offset:832
	ds_load_b128 v[20:23], v216 offset:20160
	;; [unrolled: 9-line block ×3, first 2 shown]
	s_wait_loadcnt_dscnt 0x0
	v_mul_f64_e32 v[26:27], v[22:23], v[30:31]
	scratch_store_b128 off, v[28:31], off offset:1196 ; 16-byte Folded Spill
	v_fma_f64 v[142:143], v[20:21], v[28:29], -v[26:27]
	v_mul_f64_e32 v[20:21], v[20:21], v[30:31]
	s_delay_alu instid0(VALU_DEP_2) | instskip(NEXT) | instid1(VALU_DEP_2)
	v_add_f64_e32 v[32:33], v[134:135], v[142:143]
	v_fma_f64 v[144:145], v[22:23], v[28:29], v[20:21]
	global_load_b128 v[26:29], v[24:25], off offset:864
	ds_load_b128 v[20:23], v216 offset:31680
	s_wait_loadcnt_dscnt 0x0
	v_mul_f64_e32 v[24:25], v[22:23], v[28:29]
	scratch_store_b128 off, v[26:29], off offset:1212 ; 16-byte Folded Spill
	v_fma_f64 v[150:151], v[20:21], v[26:27], -v[24:25]
	v_mul_f64_e32 v[20:21], v[20:21], v[28:29]
	s_delay_alu instid0(VALU_DEP_1) | instskip(SKIP_1) | instid1(VALU_DEP_1)
	v_fma_f64 v[148:149], v[22:23], v[26:27], v[20:21]
	v_mul_u32_u24_e32 v20, 0x8889, v192
	v_lshrrev_b32_e32 v20, 21, v20
	s_delay_alu instid0(VALU_DEP_1) | instskip(NEXT) | instid1(VALU_DEP_1)
	v_mul_lo_u16 v20, v20, 60
	v_sub_nc_u16 v213, v191, v20
	s_delay_alu instid0(VALU_DEP_1) | instskip(NEXT) | instid1(VALU_DEP_1)
	v_mul_lo_u16 v20, 0x50, v213
	v_and_b32_e32 v20, 0xffff, v20
	s_delay_alu instid0(VALU_DEP_1)
	v_add_co_u32 v24, s14, s0, v20
	s_wait_alu 0xf1ff
	v_add_co_ci_u32_e64 v25, null, s1, 0, s14
	ds_load_b128 v[20:23], v216 offset:9600
	global_load_b128 v[28:31], v[24:25], off offset:800
	s_wait_loadcnt_dscnt 0x0
	v_mul_f64_e32 v[26:27], v[22:23], v[30:31]
	scratch_store_b128 off, v[28:31], off offset:1228 ; 16-byte Folded Spill
	v_fma_f64 v[146:147], v[20:21], v[28:29], -v[26:27]
	v_mul_f64_e32 v[20:21], v[20:21], v[30:31]
	s_delay_alu instid0(VALU_DEP_1)
	v_fma_f64 v[152:153], v[22:23], v[28:29], v[20:21]
	global_load_b128 v[28:31], v[24:25], off offset:816
	ds_load_b128 v[20:23], v216 offset:15360
	s_wait_loadcnt_dscnt 0x0
	v_mul_f64_e32 v[26:27], v[22:23], v[30:31]
	scratch_store_b128 off, v[28:31], off offset:1244 ; 16-byte Folded Spill
	v_fma_f64 v[154:155], v[20:21], v[28:29], -v[26:27]
	v_mul_f64_e32 v[20:21], v[20:21], v[30:31]
	s_delay_alu instid0(VALU_DEP_1)
	v_fma_f64 v[156:157], v[22:23], v[28:29], v[20:21]
	global_load_b128 v[28:31], v[24:25], off offset:832
	ds_load_b128 v[20:23], v216 offset:21120
	;; [unrolled: 9-line block ×3, first 2 shown]
	s_wait_loadcnt_dscnt 0x0
	v_mul_f64_e32 v[26:27], v[22:23], v[30:31]
	scratch_store_b128 off, v[28:31], off offset:1276 ; 16-byte Folded Spill
	v_fma_f64 v[162:163], v[20:21], v[28:29], -v[26:27]
	v_mul_f64_e32 v[20:21], v[20:21], v[30:31]
	s_delay_alu instid0(VALU_DEP_2) | instskip(NEXT) | instid1(VALU_DEP_2)
	v_add_f64_e32 v[40:41], v[154:155], v[162:163]
	v_fma_f64 v[164:165], v[22:23], v[28:29], v[20:21]
	global_load_b128 v[26:29], v[24:25], off offset:864
	ds_load_b128 v[20:23], v216 offset:32640
	s_wait_loadcnt_dscnt 0x0
	v_mul_f64_e32 v[24:25], v[22:23], v[28:29]
	scratch_store_b128 off, v[26:29], off offset:1292 ; 16-byte Folded Spill
	v_fma_f64 v[168:169], v[20:21], v[26:27], -v[24:25]
	v_mul_f64_e32 v[20:21], v[20:21], v[28:29]
	s_delay_alu instid0(VALU_DEP_1) | instskip(SKIP_1) | instid1(VALU_DEP_1)
	v_fma_f64 v[166:167], v[22:23], v[26:27], v[20:21]
	v_mul_u32_u24_e32 v20, 0x8889, v194
	v_lshrrev_b32_e32 v20, 21, v20
	s_delay_alu instid0(VALU_DEP_1) | instskip(NEXT) | instid1(VALU_DEP_1)
	v_mul_lo_u16 v20, v20, 60
	v_sub_nc_u16 v214, v193, v20
	s_delay_alu instid0(VALU_DEP_1) | instskip(NEXT) | instid1(VALU_DEP_1)
	v_mul_lo_u16 v20, 0x50, v214
	v_and_b32_e32 v20, 0xffff, v20
	s_delay_alu instid0(VALU_DEP_1)
	v_add_co_u32 v24, s14, s0, v20
	s_wait_alu 0xf1ff
	v_add_co_ci_u32_e64 v25, null, s1, 0, s14
	ds_load_b128 v[20:23], v216 offset:10560
	global_load_b128 v[28:31], v[24:25], off offset:800
	s_wait_loadcnt_dscnt 0x0
	v_mul_f64_e32 v[26:27], v[22:23], v[30:31]
	scratch_store_b128 off, v[28:31], off offset:1312 ; 16-byte Folded Spill
	v_fma_f64 v[170:171], v[20:21], v[28:29], -v[26:27]
	v_mul_f64_e32 v[20:21], v[20:21], v[30:31]
	s_delay_alu instid0(VALU_DEP_1)
	v_fma_f64 v[172:173], v[22:23], v[28:29], v[20:21]
	global_load_b128 v[28:31], v[24:25], off offset:816
	ds_load_b128 v[20:23], v216 offset:16320
	s_wait_loadcnt_dscnt 0x0
	v_mul_f64_e32 v[26:27], v[22:23], v[30:31]
	scratch_store_b128 off, v[28:31], off offset:1328 ; 16-byte Folded Spill
	v_fma_f64 v[174:175], v[20:21], v[28:29], -v[26:27]
	v_mul_f64_e32 v[20:21], v[20:21], v[30:31]
	s_delay_alu instid0(VALU_DEP_1)
	v_fma_f64 v[176:177], v[22:23], v[28:29], v[20:21]
	global_load_b128 v[28:31], v[24:25], off offset:832
	ds_load_b128 v[20:23], v216 offset:22080
	;; [unrolled: 9-line block ×3, first 2 shown]
	s_wait_loadcnt_dscnt 0x0
	v_mul_f64_e32 v[26:27], v[22:23], v[30:31]
	scratch_store_b128 off, v[28:31], off offset:1360 ; 16-byte Folded Spill
	v_fma_f64 v[182:183], v[20:21], v[28:29], -v[26:27]
	v_mul_f64_e32 v[20:21], v[20:21], v[30:31]
	s_delay_alu instid0(VALU_DEP_2) | instskip(NEXT) | instid1(VALU_DEP_2)
	v_add_f64_e32 v[56:57], v[174:175], v[182:183]
	v_fma_f64 v[184:185], v[22:23], v[28:29], v[20:21]
	global_load_b128 v[26:29], v[24:25], off offset:864
	ds_load_b128 v[20:23], v216 offset:33600
	s_wait_loadcnt_dscnt 0x0
	v_mul_f64_e32 v[24:25], v[22:23], v[28:29]
	scratch_store_b128 off, v[26:29], off offset:1376 ; 16-byte Folded Spill
	v_fma_f64 v[188:189], v[20:21], v[26:27], -v[24:25]
	v_mul_f64_e32 v[20:21], v[20:21], v[28:29]
	v_add_f64_e32 v[24:25], v[76:77], v[94:95]
	s_delay_alu instid0(VALU_DEP_2)
	v_fma_f64 v[186:187], v[22:23], v[26:27], v[20:21]
	ds_load_b128 v[20:23], v216
	v_add_f64_e32 v[26:27], v[74:75], v[86:87]
	s_wait_dscnt 0x0
	v_fma_f64 v[190:191], v[24:25], -0.5, v[20:21]
	v_add_f64_e32 v[24:25], v[80:81], v[98:99]
	v_add_f64_e32 v[20:21], v[20:21], v[76:77]
	s_delay_alu instid0(VALU_DEP_4) | instskip(NEXT) | instid1(VALU_DEP_3)
	v_add_f64_e32 v[26:27], v[26:27], v[102:103]
	v_fma_f64 v[192:193], v[24:25], -0.5, v[22:23]
	v_add_f64_e32 v[24:25], v[70:71], v[90:91]
	v_add_f64_e32 v[22:23], v[22:23], v[80:81]
	;; [unrolled: 1-line block ×3, first 2 shown]
	s_delay_alu instid0(VALU_DEP_3) | instskip(NEXT) | instid1(VALU_DEP_3)
	v_add_f64_e32 v[24:25], v[24:25], v[106:107]
	v_add_f64_e32 v[22:23], v[22:23], v[98:99]
	s_delay_alu instid0(VALU_DEP_2) | instskip(SKIP_2) | instid1(VALU_DEP_4)
	v_add_f64_e32 v[44:45], v[20:21], v[24:25]
	v_add_f64_e64 v[48:49], v[20:21], -v[24:25]
	v_add_f64_e32 v[24:25], v[82:83], v[96:97]
	v_add_f64_e32 v[46:47], v[22:23], v[26:27]
	v_add_f64_e64 v[50:51], v[22:23], -v[26:27]
	ds_load_b128 v[20:23], v216 offset:960
	v_add_f64_e32 v[26:27], v[78:79], v[88:89]
	s_wait_dscnt 0x0
	v_fma_f64 v[194:195], v[24:25], -0.5, v[20:21]
	v_add_f64_e32 v[24:25], v[84:85], v[100:101]
	v_add_f64_e32 v[20:21], v[20:21], v[82:83]
	v_add_f64_e64 v[82:83], v[82:83], -v[96:97]
	v_add_f64_e32 v[26:27], v[26:27], v[118:119]
	s_delay_alu instid0(VALU_DEP_4) | instskip(SKIP_4) | instid1(VALU_DEP_4)
	v_fma_f64 v[196:197], v[24:25], -0.5, v[22:23]
	v_add_f64_e32 v[24:25], v[72:73], v[92:93]
	v_add_f64_e32 v[22:23], v[22:23], v[84:85]
	;; [unrolled: 1-line block ×3, first 2 shown]
	v_add_f64_e64 v[84:85], v[84:85], -v[100:101]
	v_add_f64_e32 v[24:25], v[24:25], v[120:121]
	s_delay_alu instid0(VALU_DEP_4) | instskip(SKIP_1) | instid1(VALU_DEP_3)
	v_add_f64_e32 v[22:23], v[22:23], v[100:101]
	v_add_f64_e64 v[100:101], v[110:111], -v[122:123]
	v_add_f64_e32 v[60:61], v[20:21], v[24:25]
	v_add_f64_e64 v[64:65], v[20:21], -v[24:25]
	v_add_f64_e32 v[24:25], v[110:111], v[122:123]
	v_add_f64_e32 v[62:63], v[22:23], v[26:27]
	v_add_f64_e64 v[66:67], v[22:23], -v[26:27]
	ds_load_b128 v[20:23], v216 offset:1920
	s_wait_dscnt 0x0
	v_fma_f64 v[198:199], v[24:25], -0.5, v[20:21]
	v_add_f64_e32 v[24:25], v[112:113], v[124:125]
	v_add_f64_e32 v[20:21], v[20:21], v[110:111]
	v_add_f64_e64 v[110:111], v[140:141], -v[150:151]
	s_delay_alu instid0(VALU_DEP_3) | instskip(NEXT) | instid1(VALU_DEP_3)
	v_fma_f64 v[200:201], v[24:25], -0.5, v[22:23]
	v_add_f64_e32 v[24:25], v[20:21], v[122:123]
	v_add_f64_e32 v[20:21], v[104:105], v[116:117]
	v_add_f64_e32 v[22:23], v[22:23], v[112:113]
	s_delay_alu instid0(VALU_DEP_2) | instskip(SKIP_1) | instid1(VALU_DEP_3)
	v_add_f64_e32 v[28:29], v[20:21], v[128:129]
	v_add_f64_e32 v[20:21], v[108:109], v[114:115]
	;; [unrolled: 1-line block ×3, first 2 shown]
	s_delay_alu instid0(VALU_DEP_2) | instskip(NEXT) | instid1(VALU_DEP_4)
	v_add_f64_e32 v[30:31], v[20:21], v[126:127]
	v_add_f64_e32 v[20:21], v[24:25], v[28:29]
	v_add_f64_e64 v[24:25], v[24:25], -v[28:29]
	s_delay_alu instid0(VALU_DEP_3)
	v_add_f64_e32 v[22:23], v[26:27], v[30:31]
	v_add_f64_e64 v[26:27], v[26:27], -v[30:31]
	ds_load_b128 v[28:31], v216 offset:2880
	s_wait_dscnt 0x0
	v_fma_f64 v[202:203], v[32:33], -0.5, v[28:29]
	v_add_f64_e32 v[32:33], v[136:137], v[144:145]
	v_add_f64_e32 v[28:29], v[28:29], v[134:135]
	s_delay_alu instid0(VALU_DEP_2) | instskip(NEXT) | instid1(VALU_DEP_2)
	v_fma_f64 v[204:205], v[32:33], -0.5, v[30:31]
	v_add_f64_e32 v[32:33], v[28:29], v[142:143]
	v_add_f64_e32 v[28:29], v[130:131], v[140:141]
	;; [unrolled: 1-line block ×3, first 2 shown]
	s_delay_alu instid0(VALU_DEP_2) | instskip(SKIP_1) | instid1(VALU_DEP_3)
	v_add_f64_e32 v[36:37], v[28:29], v[150:151]
	v_add_f64_e32 v[28:29], v[132:133], v[138:139]
	;; [unrolled: 1-line block ×3, first 2 shown]
	s_delay_alu instid0(VALU_DEP_2) | instskip(NEXT) | instid1(VALU_DEP_4)
	v_add_f64_e32 v[38:39], v[28:29], v[148:149]
	v_add_f64_e32 v[28:29], v[32:33], v[36:37]
	v_add_f64_e64 v[32:33], v[32:33], -v[36:37]
	s_delay_alu instid0(VALU_DEP_3)
	v_add_f64_e32 v[30:31], v[34:35], v[38:39]
	v_add_f64_e64 v[34:35], v[34:35], -v[38:39]
	ds_load_b128 v[36:39], v216 offset:3840
	s_wait_dscnt 0x0
	v_fma_f64 v[206:207], v[40:41], -0.5, v[36:37]
	v_add_f64_e32 v[40:41], v[156:157], v[164:165]
	v_add_f64_e32 v[36:37], v[36:37], v[154:155]
	s_delay_alu instid0(VALU_DEP_2) | instskip(NEXT) | instid1(VALU_DEP_2)
	v_fma_f64 v[208:209], v[40:41], -0.5, v[38:39]
	v_add_f64_e32 v[40:41], v[36:37], v[162:163]
	v_add_f64_e32 v[36:37], v[146:147], v[160:161]
	;; [unrolled: 1-line block ×3, first 2 shown]
	s_delay_alu instid0(VALU_DEP_2) | instskip(SKIP_1) | instid1(VALU_DEP_3)
	v_add_f64_e32 v[52:53], v[36:37], v[168:169]
	v_add_f64_e32 v[36:37], v[152:153], v[158:159]
	;; [unrolled: 1-line block ×3, first 2 shown]
	s_delay_alu instid0(VALU_DEP_2) | instskip(NEXT) | instid1(VALU_DEP_4)
	v_add_f64_e32 v[54:55], v[36:37], v[166:167]
	v_add_f64_e32 v[36:37], v[40:41], v[52:53]
	v_add_f64_e64 v[40:41], v[40:41], -v[52:53]
	s_delay_alu instid0(VALU_DEP_3)
	v_add_f64_e32 v[38:39], v[42:43], v[54:55]
	v_add_f64_e64 v[42:43], v[42:43], -v[54:55]
	ds_load_b128 v[52:55], v216 offset:4800
	global_wb scope:SCOPE_SE
	s_wait_storecnt_dscnt 0x0
	s_barrier_signal -1
	s_barrier_wait -1
	global_inv scope:SCOPE_SE
	ds_store_b128 v216, v[44:47]
	ds_store_b128 v216, v[48:51] offset:2880
	ds_store_b128 v216, v[60:63] offset:5760
	;; [unrolled: 1-line block ×3, first 2 shown]
	v_add_f64_e32 v[44:45], v[90:91], v[106:107]
	v_add_f64_e32 v[46:47], v[86:87], v[102:103]
	v_add_f64_e64 v[60:61], v[90:91], -v[106:107]
	v_add_f64_e64 v[66:67], v[76:77], -v[94:95]
	v_add_f64_e64 v[64:65], v[80:81], -v[98:99]
	v_fma_f64 v[90:91], v[84:85], s[10:11], v[194:195]
	v_fma_f64 v[84:85], v[84:85], s[2:3], v[194:195]
	v_add_f64_e64 v[94:95], v[116:117], -v[128:129]
	v_add_f64_e64 v[98:99], v[112:113], -v[124:125]
	v_fma_f64 v[220:221], v[56:57], -0.5, v[52:53]
	v_add_f64_e32 v[56:57], v[176:177], v[184:185]
	v_add_f64_e32 v[52:53], v[52:53], v[174:175]
	v_fma_f64 v[70:71], v[44:45], -0.5, v[70:71]
	v_fma_f64 v[62:63], v[46:47], -0.5, v[74:75]
	v_add_f64_e64 v[74:75], v[86:87], -v[102:103]
	v_fma_f64 v[80:81], v[66:67], s[2:3], v[192:193]
	v_fma_f64 v[66:67], v[66:67], s[10:11], v[192:193]
	;; [unrolled: 1-line block ×4, first 2 shown]
	v_add_f64_e64 v[86:87], v[88:89], -v[118:119]
	v_add_f64_e64 v[102:103], v[114:115], -v[126:127]
	v_fma_f64 v[106:107], v[98:99], s[10:11], v[198:199]
	v_fma_f64 v[98:99], v[98:99], s[2:3], v[198:199]
	v_fma_f64 v[222:223], v[56:57], -0.5, v[54:55]
	v_add_f64_e32 v[56:57], v[52:53], v[182:183]
	v_add_f64_e32 v[52:53], v[170:171], v[180:181]
	;; [unrolled: 1-line block ×3, first 2 shown]
	v_fma_f64 v[44:45], v[60:61], s[2:3], v[62:63]
	v_fma_f64 v[46:47], v[74:75], s[10:11], v[70:71]
	;; [unrolled: 1-line block ×4, first 2 shown]
	v_add_f64_e32 v[224:225], v[52:53], v[188:189]
	v_add_f64_e32 v[52:53], v[172:173], v[178:179]
	;; [unrolled: 1-line block ×3, first 2 shown]
	v_mul_f64_e32 v[48:49], s[10:11], v[44:45]
	v_mul_f64_e32 v[62:63], -0.5, v[70:71]
	s_delay_alu instid0(VALU_DEP_4)
	v_add_f64_e32 v[226:227], v[52:53], v[186:187]
	v_add_f64_e32 v[52:53], v[56:57], v[224:225]
	v_add_f64_e64 v[56:57], v[56:57], -v[224:225]
	v_fma_f64 v[48:49], v[46:47], 0.5, v[48:49]
	v_mul_f64_e32 v[46:47], s[2:3], v[46:47]
	v_fma_f64 v[74:75], v[60:61], s[10:11], v[62:63]
	v_mul_f64_e32 v[60:61], -0.5, v[60:61]
	v_add_f64_e32 v[54:55], v[58:59], v[226:227]
	v_add_f64_e64 v[58:59], v[58:59], -v[226:227]
	v_fma_f64 v[50:51], v[44:45], 0.5, v[46:47]
	v_add_f64_e32 v[44:45], v[76:77], v[48:49]
	v_fma_f64 v[70:71], v[70:71], s[2:3], v[60:61]
	v_add_f64_e32 v[60:61], v[64:65], v[74:75]
	v_add_f64_e64 v[64:65], v[64:65], -v[74:75]
	v_add_f64_e32 v[74:75], v[88:89], v[118:119]
	v_add_f64_e64 v[118:119], v[138:139], -v[148:149]
	v_add_f64_e64 v[48:49], v[76:77], -v[48:49]
	v_add_f64_e32 v[46:47], v[80:81], v[50:51]
	v_add_f64_e64 v[50:51], v[80:81], -v[50:51]
	v_add_f64_e32 v[62:63], v[66:67], v[70:71]
	;; [unrolled: 2-line block ×3, first 2 shown]
	v_add_f64_e64 v[80:81], v[92:93], -v[120:121]
	v_fma_f64 v[78:79], v[74:75], -0.5, v[78:79]
	v_fma_f64 v[92:93], v[82:83], s[2:3], v[196:197]
	s_delay_alu instid0(VALU_DEP_4) | instskip(NEXT) | instid1(VALU_DEP_3)
	v_fma_f64 v[88:89], v[70:71], -0.5, v[72:73]
	v_fma_f64 v[70:71], v[80:81], s[2:3], v[78:79]
	v_fma_f64 v[78:79], v[80:81], s[10:11], v[78:79]
	s_delay_alu instid0(VALU_DEP_3) | instskip(SKIP_3) | instid1(VALU_DEP_3)
	v_fma_f64 v[72:73], v[86:87], s[10:11], v[88:89]
	v_fma_f64 v[86:87], v[86:87], s[2:3], v[88:89]
	;; [unrolled: 1-line block ×3, first 2 shown]
	v_mul_f64_e32 v[74:75], s[10:11], v[70:71]
	v_mul_f64_e32 v[80:81], -0.5, v[86:87]
	s_delay_alu instid0(VALU_DEP_2) | instskip(SKIP_1) | instid1(VALU_DEP_3)
	v_fma_f64 v[74:75], v[72:73], 0.5, v[74:75]
	v_mul_f64_e32 v[72:73], s[2:3], v[72:73]
	v_fma_f64 v[82:83], v[78:79], s[10:11], v[80:81]
	v_mul_f64_e32 v[78:79], -0.5, v[78:79]
	s_delay_alu instid0(VALU_DEP_3) | instskip(SKIP_2) | instid1(VALU_DEP_4)
	v_fma_f64 v[76:77], v[70:71], 0.5, v[72:73]
	v_add_f64_e32 v[70:71], v[90:91], v[74:75]
	v_add_f64_e64 v[74:75], v[90:91], -v[74:75]
	v_fma_f64 v[86:87], v[86:87], s[2:3], v[78:79]
	v_add_f64_e32 v[78:79], v[84:85], v[82:83]
	v_add_f64_e64 v[82:83], v[84:85], -v[82:83]
	v_add_f64_e32 v[72:73], v[92:93], v[76:77]
	v_add_f64_e64 v[76:77], v[92:93], -v[76:77]
	;; [unrolled: 2-line block ×3, first 2 shown]
	v_add_f64_e32 v[86:87], v[116:117], v[128:129]
	v_add_f64_e32 v[88:89], v[114:115], v[126:127]
	v_add_f64_e64 v[116:117], v[134:135], -v[142:143]
	v_add_f64_e64 v[114:115], v[136:137], -v[144:145]
	;; [unrolled: 1-line block ×5, first 2 shown]
	ds_store_b128 v216, v[44:47] offset:960
	ds_store_b128 v216, v[60:63] offset:1920
	;; [unrolled: 1-line block ×8, first 2 shown]
	v_lshlrev_b32_e32 v44, 4, v211
	v_fma_f64 v[104:105], v[86:87], -0.5, v[104:105]
	v_fma_f64 v[96:97], v[88:89], -0.5, v[108:109]
	v_fma_f64 v[108:109], v[100:101], s[2:3], v[200:201]
	v_fma_f64 v[100:101], v[100:101], s[10:11], v[200:201]
	;; [unrolled: 1-line block ×10, first 2 shown]
	s_delay_alu instid0(VALU_DEP_3) | instskip(NEXT) | instid1(VALU_DEP_3)
	v_mul_f64_e32 v[96:97], -0.5, v[102:103]
	v_mul_f64_e32 v[90:91], s[10:11], v[86:87]
	s_delay_alu instid0(VALU_DEP_2) | instskip(SKIP_1) | instid1(VALU_DEP_3)
	v_fma_f64 v[104:105], v[94:95], s[10:11], v[96:97]
	v_mul_f64_e32 v[94:95], -0.5, v[94:95]
	v_fma_f64 v[90:91], v[88:89], 0.5, v[90:91]
	v_mul_f64_e32 v[88:89], s[2:3], v[88:89]
	s_delay_alu instid0(VALU_DEP_3)
	v_fma_f64 v[102:103], v[102:103], s[2:3], v[94:95]
	v_add_f64_e32 v[94:95], v[98:99], v[104:105]
	v_add_f64_e64 v[98:99], v[98:99], -v[104:105]
	v_add_f64_e32 v[104:105], v[138:139], v[148:149]
	v_fma_f64 v[92:93], v[86:87], 0.5, v[88:89]
	v_add_f64_e32 v[86:87], v[106:107], v[90:91]
	v_add_f64_e64 v[90:91], v[106:107], -v[90:91]
	v_add_f64_e64 v[148:149], v[174:175], -v[182:183]
	v_add_f64_e32 v[96:97], v[100:101], v[102:103]
	v_add_f64_e64 v[100:101], v[100:101], -v[102:103]
	v_add_f64_e32 v[102:103], v[140:141], v[150:151]
	v_fma_f64 v[112:113], v[104:105], -0.5, v[132:133]
	v_add_f64_e64 v[132:133], v[154:155], -v[162:163]
	v_add_f64_e32 v[88:89], v[108:109], v[92:93]
	v_add_f64_e64 v[92:93], v[108:109], -v[92:93]
	v_add_f64_e64 v[150:151], v[178:179], -v[186:187]
	ds_store_b128 v44, v[20:23] offset:11520
	ds_store_b128 v44, v[86:89] offset:12480
	;; [unrolled: 1-line block ×5, first 2 shown]
	v_fma_f64 v[120:121], v[102:103], -0.5, v[130:131]
	v_fma_f64 v[102:103], v[110:111], s[2:3], v[112:113]
	v_fma_f64 v[110:111], v[110:111], s[10:11], v[112:113]
	v_add_f64_e64 v[130:131], v[156:157], -v[164:165]
	v_fma_f64 v[140:141], v[132:133], s[2:3], v[208:209]
	v_fma_f64 v[132:133], v[132:133], s[10:11], v[208:209]
	;; [unrolled: 1-line block ×4, first 2 shown]
	v_lshlrev_b32_e32 v20, 4, v212
	scratch_store_b32 off, v44, off offset:1576 ; 4-byte Folded Spill
	ds_store_b128 v44, v[98:101] offset:16320
	v_fma_f64 v[104:105], v[118:119], s[10:11], v[120:121]
	v_fma_f64 v[118:119], v[118:119], s[2:3], v[120:121]
	v_mul_f64_e32 v[106:107], s[10:11], v[102:103]
	v_fma_f64 v[138:139], v[130:131], s[10:11], v[206:207]
	v_fma_f64 v[130:131], v[130:131], s[2:3], v[206:207]
	s_delay_alu instid0(VALU_DEP_4) | instskip(NEXT) | instid1(VALU_DEP_4)
	v_mul_f64_e32 v[112:113], -0.5, v[118:119]
	v_fma_f64 v[106:107], v[104:105], 0.5, v[106:107]
	v_mul_f64_e32 v[104:105], s[2:3], v[104:105]
	s_delay_alu instid0(VALU_DEP_3) | instskip(SKIP_1) | instid1(VALU_DEP_3)
	v_fma_f64 v[120:121], v[110:111], s[10:11], v[112:113]
	v_mul_f64_e32 v[110:111], -0.5, v[110:111]
	v_fma_f64 v[108:109], v[102:103], 0.5, v[104:105]
	v_add_f64_e32 v[102:103], v[122:123], v[106:107]
	v_add_f64_e64 v[106:107], v[122:123], -v[106:107]
	s_delay_alu instid0(VALU_DEP_4)
	v_fma_f64 v[118:119], v[118:119], s[2:3], v[110:111]
	v_add_f64_e32 v[110:111], v[114:115], v[120:121]
	v_add_f64_e64 v[114:115], v[114:115], -v[120:121]
	v_add_f64_e32 v[120:121], v[158:159], v[166:167]
	v_add_f64_e32 v[104:105], v[124:125], v[108:109]
	v_add_f64_e64 v[108:109], v[124:125], -v[108:109]
	v_add_f64_e32 v[112:113], v[116:117], v[118:119]
	v_add_f64_e64 v[116:117], v[116:117], -v[118:119]
	v_add_f64_e32 v[118:119], v[160:161], v[168:169]
	v_fma_f64 v[128:129], v[120:121], -0.5, v[152:153]
	ds_store_b128 v20, v[28:31] offset:17280
	ds_store_b128 v20, v[102:105] offset:18240
	;; [unrolled: 1-line block ×5, first 2 shown]
	scratch_store_b32 off, v20, off offset:1492 ; 4-byte Folded Spill
	ds_store_b128 v20, v[114:117] offset:22080
	v_fma_f64 v[136:137], v[118:119], -0.5, v[146:147]
	v_fma_f64 v[118:119], v[126:127], s[2:3], v[128:129]
	v_fma_f64 v[126:127], v[126:127], s[10:11], v[128:129]
	v_add_f64_e64 v[146:147], v[176:177], -v[184:185]
	v_and_b32_e32 v20, 0xffff, v213
	s_delay_alu instid0(VALU_DEP_1)
	v_lshlrev_b32_e32 v20, 4, v20
	v_fma_f64 v[120:121], v[134:135], s[10:11], v[136:137]
	v_fma_f64 v[134:135], v[134:135], s[2:3], v[136:137]
	v_mul_f64_e32 v[122:123], s[10:11], v[118:119]
	v_fma_f64 v[154:155], v[146:147], s[10:11], v[220:221]
	v_fma_f64 v[146:147], v[146:147], s[2:3], v[220:221]
	s_delay_alu instid0(VALU_DEP_4) | instskip(NEXT) | instid1(VALU_DEP_4)
	v_mul_f64_e32 v[128:129], -0.5, v[134:135]
	v_fma_f64 v[122:123], v[120:121], 0.5, v[122:123]
	v_mul_f64_e32 v[120:121], s[2:3], v[120:121]
	s_delay_alu instid0(VALU_DEP_3) | instskip(SKIP_1) | instid1(VALU_DEP_3)
	v_fma_f64 v[136:137], v[126:127], s[10:11], v[128:129]
	v_mul_f64_e32 v[126:127], -0.5, v[126:127]
	v_fma_f64 v[124:125], v[118:119], 0.5, v[120:121]
	v_add_f64_e32 v[118:119], v[138:139], v[122:123]
	v_add_f64_e64 v[122:123], v[138:139], -v[122:123]
	s_delay_alu instid0(VALU_DEP_4)
	v_fma_f64 v[134:135], v[134:135], s[2:3], v[126:127]
	v_add_f64_e32 v[126:127], v[130:131], v[136:137]
	v_add_f64_e64 v[130:131], v[130:131], -v[136:137]
	v_add_f64_e32 v[136:137], v[178:179], v[186:187]
	v_add_f64_e32 v[120:121], v[140:141], v[124:125]
	v_add_f64_e64 v[124:125], v[140:141], -v[124:125]
	v_add_f64_e32 v[128:129], v[132:133], v[134:135]
	v_add_f64_e64 v[132:133], v[132:133], -v[134:135]
	v_add_f64_e32 v[134:135], v[180:181], v[188:189]
	v_fma_f64 v[144:145], v[136:137], -0.5, v[172:173]
	ds_store_b128 v20, v[36:39] offset:23040
	ds_store_b128 v20, v[118:121] offset:24000
	;; [unrolled: 1-line block ×5, first 2 shown]
	scratch_store_b32 off, v20, off offset:1424 ; 4-byte Folded Spill
	ds_store_b128 v20, v[130:133] offset:27840
	v_fma_f64 v[152:153], v[134:135], -0.5, v[170:171]
	v_fma_f64 v[134:135], v[142:143], s[2:3], v[144:145]
	v_fma_f64 v[142:143], v[142:143], s[10:11], v[144:145]
	v_and_b32_e32 v20, 0xffff, v214
	s_delay_alu instid0(VALU_DEP_1) | instskip(SKIP_3) | instid1(VALU_DEP_2)
	v_lshlrev_b32_e32 v20, 4, v20
	v_fma_f64 v[136:137], v[150:151], s[10:11], v[152:153]
	v_fma_f64 v[150:151], v[150:151], s[2:3], v[152:153]
	v_mul_f64_e32 v[138:139], s[10:11], v[134:135]
	v_mul_f64_e32 v[144:145], -0.5, v[150:151]
	s_delay_alu instid0(VALU_DEP_2) | instskip(SKIP_1) | instid1(VALU_DEP_3)
	v_fma_f64 v[138:139], v[136:137], 0.5, v[138:139]
	v_mul_f64_e32 v[136:137], s[2:3], v[136:137]
	v_fma_f64 v[152:153], v[142:143], s[10:11], v[144:145]
	v_mul_f64_e32 v[142:143], -0.5, v[142:143]
	s_delay_alu instid0(VALU_DEP_3) | instskip(SKIP_2) | instid1(VALU_DEP_4)
	v_fma_f64 v[140:141], v[134:135], 0.5, v[136:137]
	v_add_f64_e32 v[134:135], v[154:155], v[138:139]
	v_add_f64_e64 v[138:139], v[154:155], -v[138:139]
	v_fma_f64 v[150:151], v[150:151], s[2:3], v[142:143]
	s_delay_alu instid0(VALU_DEP_4)
	v_add_f64_e32 v[136:137], v[156:157], v[140:141]
	v_add_f64_e32 v[142:143], v[146:147], v[152:153]
	v_add_f64_e64 v[146:147], v[146:147], -v[152:153]
	v_add_f64_e64 v[140:141], v[156:157], -v[140:141]
	v_add_f64_e32 v[144:145], v[148:149], v[150:151]
	v_add_f64_e64 v[148:149], v[148:149], -v[150:151]
	ds_store_b128 v20, v[134:137] offset:29760
	ds_store_b128 v20, v[142:145] offset:30720
	ds_store_b128 v20, v[56:59] offset:31680
	ds_store_b128 v20, v[138:141] offset:32640
	ds_store_b128 v20, v[52:55] offset:28800
	scratch_store_b32 off, v20, off offset:1400 ; 4-byte Folded Spill
	ds_store_b128 v20, v[146:149] offset:33600
	global_wb scope:SCOPE_SE
	s_wait_storecnt_dscnt 0x0
	s_barrier_signal -1
	s_barrier_wait -1
	global_inv scope:SCOPE_SE
	global_load_b128 v[26:29], v[68:69], off offset:5600
	ds_load_b128 v[20:23], v216 offset:5760
	s_wait_loadcnt_dscnt 0x0
	v_mul_f64_e32 v[24:25], v[22:23], v[28:29]
	scratch_store_b128 off, v[26:29], off offset:1408 ; 16-byte Folded Spill
	v_fma_f64 v[44:45], v[20:21], v[26:27], -v[24:25]
	v_mul_f64_e32 v[20:21], v[20:21], v[28:29]
	s_delay_alu instid0(VALU_DEP_1)
	v_fma_f64 v[46:47], v[22:23], v[26:27], v[20:21]
	global_load_b128 v[26:29], v[68:69], off offset:5616
	ds_load_b128 v[20:23], v216 offset:11520
	s_wait_loadcnt_dscnt 0x0
	v_mul_f64_e32 v[24:25], v[22:23], v[28:29]
	scratch_store_b128 off, v[26:29], off offset:1428 ; 16-byte Folded Spill
	v_fma_f64 v[48:49], v[20:21], v[26:27], -v[24:25]
	v_mul_f64_e32 v[20:21], v[20:21], v[28:29]
	s_delay_alu instid0(VALU_DEP_1)
	v_fma_f64 v[50:51], v[22:23], v[26:27], v[20:21]
	;; [unrolled: 9-line block ×4, first 2 shown]
	global_load_b128 v[26:29], v[68:69], off offset:5664
	ds_load_b128 v[20:23], v216 offset:28800
	s_wait_loadcnt_dscnt 0x0
	v_mul_f64_e32 v[24:25], v[22:23], v[28:29]
	scratch_store_b128 off, v[26:29], off offset:1476 ; 16-byte Folded Spill
	v_fma_f64 v[68:69], v[20:21], v[26:27], -v[24:25]
	v_mad_co_u64_u32 v[24:25], null, 0x50, v210, s[0:1]
	v_mul_f64_e32 v[20:21], v[20:21], v[28:29]
	s_add_nc_u64 s[0:1], s[12:13], 0x8700
	global_load_b128 v[28:31], v[24:25], off offset:5600
	v_fma_f64 v[64:65], v[22:23], v[26:27], v[20:21]
	ds_load_b128 v[20:23], v216 offset:6720
	s_wait_loadcnt_dscnt 0x0
	v_mul_f64_e32 v[26:27], v[22:23], v[30:31]
	scratch_store_b128 off, v[28:31], off offset:1496 ; 16-byte Folded Spill
	v_fma_f64 v[60:61], v[20:21], v[28:29], -v[26:27]
	v_mul_f64_e32 v[20:21], v[20:21], v[30:31]
	s_delay_alu instid0(VALU_DEP_1)
	v_fma_f64 v[62:63], v[22:23], v[28:29], v[20:21]
	global_load_b128 v[28:31], v[24:25], off offset:5616
	ds_load_b128 v[20:23], v216 offset:12480
	s_wait_loadcnt_dscnt 0x0
	v_mul_f64_e32 v[26:27], v[22:23], v[30:31]
	scratch_store_b128 off, v[28:31], off offset:1512 ; 16-byte Folded Spill
	v_fma_f64 v[66:67], v[20:21], v[28:29], -v[26:27]
	v_mul_f64_e32 v[20:21], v[20:21], v[30:31]
	s_delay_alu instid0(VALU_DEP_1)
	v_fma_f64 v[70:71], v[22:23], v[28:29], v[20:21]
	global_load_b128 v[28:31], v[24:25], off offset:5632
	;; [unrolled: 9-line block ×3, first 2 shown]
	ds_load_b128 v[20:23], v216 offset:24000
	s_wait_loadcnt_dscnt 0x0
	v_mul_f64_e32 v[26:27], v[22:23], v[30:31]
	scratch_store_b128 off, v[28:31], off offset:1544 ; 16-byte Folded Spill
	v_fma_f64 v[76:77], v[20:21], v[28:29], -v[26:27]
	v_mul_f64_e32 v[20:21], v[20:21], v[30:31]
	s_delay_alu instid0(VALU_DEP_2) | instskip(NEXT) | instid1(VALU_DEP_2)
	v_add_f64_e32 v[32:33], v[66:67], v[76:77]
	v_fma_f64 v[78:79], v[22:23], v[28:29], v[20:21]
	global_load_b128 v[28:31], v[24:25], off offset:5664
	ds_load_b128 v[20:23], v216 offset:29760
	s_wait_loadcnt_dscnt 0x0
	v_mul_f64_e32 v[26:27], v[22:23], v[30:31]
	scratch_store_b128 off, v[28:31], off offset:1560 ; 16-byte Folded Spill
	v_fma_f64 v[82:83], v[20:21], v[28:29], -v[26:27]
	v_mul_f64_e32 v[20:21], v[20:21], v[30:31]
	s_delay_alu instid0(VALU_DEP_1)
	v_fma_f64 v[80:81], v[22:23], v[28:29], v[20:21]
	global_load_b128 v[28:31], v[24:25], off offset:10400
	ds_load_b128 v[20:23], v216 offset:7680
	s_wait_loadcnt_dscnt 0x0
	v_mul_f64_e32 v[26:27], v[22:23], v[30:31]
	scratch_store_b128 off, v[28:31], off offset:1580 ; 16-byte Folded Spill
	v_fma_f64 v[84:85], v[20:21], v[28:29], -v[26:27]
	v_mul_f64_e32 v[20:21], v[20:21], v[30:31]
	s_delay_alu instid0(VALU_DEP_1)
	;; [unrolled: 9-line block ×4, first 2 shown]
	v_fma_f64 v[92:93], v[22:23], v[28:29], v[20:21]
	global_load_b128 v[28:31], v[24:25], off offset:10448
	ds_load_b128 v[20:23], v216 offset:24960
	s_wait_loadcnt_dscnt 0x0
	v_mul_f64_e32 v[26:27], v[22:23], v[30:31]
	scratch_store_b128 off, v[28:31], off offset:1628 ; 16-byte Folded Spill
	v_fma_f64 v[96:97], v[20:21], v[28:29], -v[26:27]
	v_mul_f64_e32 v[20:21], v[20:21], v[30:31]
	s_delay_alu instid0(VALU_DEP_2) | instskip(NEXT) | instid1(VALU_DEP_2)
	v_add_f64_e32 v[40:41], v[88:89], v[96:97]
	v_fma_f64 v[98:99], v[22:23], v[28:29], v[20:21]
	global_load_b128 v[28:31], v[24:25], off offset:10464
	ds_load_b128 v[20:23], v216 offset:30720
	s_wait_loadcnt_dscnt 0x0
	v_mul_f64_e32 v[26:27], v[22:23], v[30:31]
	scratch_store_b128 off, v[28:31], off offset:1644 ; 16-byte Folded Spill
	v_fma_f64 v[108:109], v[20:21], v[28:29], -v[26:27]
	v_mul_f64_e32 v[20:21], v[20:21], v[30:31]
	s_delay_alu instid0(VALU_DEP_1)
	v_fma_f64 v[104:105], v[22:23], v[28:29], v[20:21]
	global_load_b128 v[28:31], v[24:25], off offset:15200
	ds_load_b128 v[20:23], v216 offset:8640
	s_wait_loadcnt_dscnt 0x0
	v_mul_f64_e32 v[26:27], v[22:23], v[30:31]
	scratch_store_b128 off, v[28:31], off offset:1660 ; 16-byte Folded Spill
	v_fma_f64 v[100:101], v[20:21], v[28:29], -v[26:27]
	v_mul_f64_e32 v[20:21], v[20:21], v[30:31]
	s_delay_alu instid0(VALU_DEP_1)
	v_fma_f64 v[102:103], v[22:23], v[28:29], v[20:21]
	global_load_b128 v[28:31], v[24:25], off offset:15216
	ds_load_b128 v[20:23], v216 offset:14400
	s_wait_loadcnt_dscnt 0x0
	v_mul_f64_e32 v[26:27], v[22:23], v[30:31]
	scratch_store_b128 off, v[28:31], off offset:1676 ; 16-byte Folded Spill
	v_fma_f64 v[106:107], v[20:21], v[28:29], -v[26:27]
	v_mul_f64_e32 v[20:21], v[20:21], v[30:31]
	s_delay_alu instid0(VALU_DEP_1)
	v_fma_f64 v[110:111], v[22:23], v[28:29], v[20:21]
	global_load_b128 v[28:31], v[24:25], off offset:15232
	ds_load_b128 v[20:23], v216 offset:20160
	s_wait_loadcnt_dscnt 0x0
	v_mul_f64_e32 v[26:27], v[22:23], v[30:31]
	scratch_store_b128 off, v[28:31], off offset:1692 ; 16-byte Folded Spill
	v_fma_f64 v[114:115], v[20:21], v[28:29], -v[26:27]
	v_mul_f64_e32 v[20:21], v[20:21], v[30:31]
	s_delay_alu instid0(VALU_DEP_1)
	v_fma_f64 v[112:113], v[22:23], v[28:29], v[20:21]
	global_load_b128 v[28:31], v[24:25], off offset:15248
	ds_load_b128 v[20:23], v216 offset:25920
	s_wait_loadcnt_dscnt 0x0
	v_mul_f64_e32 v[26:27], v[22:23], v[30:31]
	scratch_store_b128 off, v[28:31], off offset:1708 ; 16-byte Folded Spill
	v_fma_f64 v[116:117], v[20:21], v[28:29], -v[26:27]
	v_mul_f64_e32 v[20:21], v[20:21], v[30:31]
	s_delay_alu instid0(VALU_DEP_2) | instskip(NEXT) | instid1(VALU_DEP_2)
	v_add_f64_e32 v[176:177], v[106:107], v[116:117]
	v_fma_f64 v[118:119], v[22:23], v[28:29], v[20:21]
	global_load_b128 v[28:31], v[24:25], off offset:15264
	ds_load_b128 v[20:23], v216 offset:31680
	v_add_f64_e32 v[178:179], v[110:111], v[118:119]
	s_wait_loadcnt_dscnt 0x0
	v_mul_f64_e32 v[26:27], v[22:23], v[30:31]
	scratch_store_b128 off, v[28:31], off offset:1724 ; 16-byte Folded Spill
	v_fma_f64 v[122:123], v[20:21], v[28:29], -v[26:27]
	v_mul_f64_e32 v[20:21], v[20:21], v[30:31]
	s_delay_alu instid0(VALU_DEP_1)
	v_fma_f64 v[120:121], v[22:23], v[28:29], v[20:21]
	global_load_b128 v[28:31], v[24:25], off offset:20000
	ds_load_b128 v[20:23], v216 offset:9600
	s_wait_loadcnt_dscnt 0x0
	v_mul_f64_e32 v[26:27], v[22:23], v[30:31]
	scratch_store_b128 off, v[28:31], off offset:1740 ; 16-byte Folded Spill
	v_fma_f64 v[124:125], v[20:21], v[28:29], -v[26:27]
	v_mul_f64_e32 v[20:21], v[20:21], v[30:31]
	s_delay_alu instid0(VALU_DEP_1)
	v_fma_f64 v[126:127], v[22:23], v[28:29], v[20:21]
	global_load_b128 v[28:31], v[24:25], off offset:20016
	ds_load_b128 v[20:23], v216 offset:15360
	;; [unrolled: 9-line block ×4, first 2 shown]
	v_add_f64_e32 v[226:227], v[126:127], v[132:133]
	s_wait_loadcnt_dscnt 0x0
	v_mul_f64_e32 v[26:27], v[22:23], v[30:31]
	scratch_store_b128 off, v[28:31], off offset:1788 ; 16-byte Folded Spill
	v_fma_f64 v[136:137], v[20:21], v[28:29], -v[26:27]
	v_mul_f64_e32 v[20:21], v[20:21], v[30:31]
	s_delay_alu instid0(VALU_DEP_1)
	v_fma_f64 v[138:139], v[22:23], v[28:29], v[20:21]
	global_load_b128 v[28:31], v[24:25], off offset:20064
	ds_load_b128 v[20:23], v216 offset:32640
	s_wait_loadcnt_dscnt 0x0
	v_mul_f64_e32 v[26:27], v[22:23], v[30:31]
	scratch_store_b128 off, v[28:31], off offset:1804 ; 16-byte Folded Spill
	v_fma_f64 v[150:151], v[20:21], v[28:29], -v[26:27]
	v_mul_f64_e32 v[20:21], v[20:21], v[30:31]
	s_delay_alu instid0(VALU_DEP_1)
	v_fma_f64 v[146:147], v[22:23], v[28:29], v[20:21]
	global_load_b128 v[28:31], v[24:25], off offset:24800
	ds_load_b128 v[20:23], v216 offset:10560
	v_add_f64_e32 v[226:227], v[226:227], v[146:147]
	s_wait_loadcnt_dscnt 0x0
	v_mul_f64_e32 v[26:27], v[22:23], v[30:31]
	scratch_store_b128 off, v[28:31], off offset:1820 ; 16-byte Folded Spill
	v_fma_f64 v[140:141], v[20:21], v[28:29], -v[26:27]
	v_mul_f64_e32 v[20:21], v[20:21], v[30:31]
	s_delay_alu instid0(VALU_DEP_1)
	v_fma_f64 v[142:143], v[22:23], v[28:29], v[20:21]
	global_load_b128 v[28:31], v[24:25], off offset:24816
	ds_load_b128 v[20:23], v216 offset:16320
	s_wait_loadcnt_dscnt 0x0
	v_mul_f64_e32 v[26:27], v[22:23], v[30:31]
	scratch_store_b128 off, v[28:31], off offset:1836 ; 16-byte Folded Spill
	v_fma_f64 v[144:145], v[20:21], v[28:29], -v[26:27]
	v_mul_f64_e32 v[20:21], v[20:21], v[30:31]
	s_delay_alu instid0(VALU_DEP_1)
	v_fma_f64 v[148:149], v[22:23], v[28:29], v[20:21]
	global_load_b128 v[28:31], v[24:25], off offset:24832
	ds_load_b128 v[20:23], v216 offset:22080
	;; [unrolled: 9-line block ×4, first 2 shown]
	s_wait_loadcnt_dscnt 0x0
	v_mul_f64_e32 v[24:25], v[22:23], v[28:29]
	scratch_store_b128 off, v[26:29], off offset:1884 ; 16-byte Folded Spill
	v_fma_f64 v[234:235], v[20:21], v[26:27], -v[24:25]
	v_mul_f64_e32 v[20:21], v[20:21], v[28:29]
	v_add_f64_e32 v[24:25], v[48:49], v[56:57]
	s_delay_alu instid0(VALU_DEP_2)
	v_fma_f64 v[232:233], v[22:23], v[26:27], v[20:21]
	ds_load_b128 v[20:23], v216
	s_wait_dscnt 0x0
	v_fma_f64 v[160:161], v[24:25], -0.5, v[20:21]
	v_add_f64_e32 v[24:25], v[50:51], v[58:59]
	v_add_f64_e32 v[20:21], v[20:21], v[48:49]
	s_delay_alu instid0(VALU_DEP_2) | instskip(NEXT) | instid1(VALU_DEP_2)
	v_fma_f64 v[166:167], v[24:25], -0.5, v[22:23]
	v_add_f64_e32 v[24:25], v[20:21], v[56:57]
	v_add_f64_e32 v[20:21], v[44:45], v[54:55]
	;; [unrolled: 1-line block ×3, first 2 shown]
	v_add_f64_e64 v[56:57], v[48:49], -v[56:57]
	s_delay_alu instid0(VALU_DEP_3) | instskip(SKIP_1) | instid1(VALU_DEP_4)
	v_add_f64_e32 v[28:29], v[20:21], v[68:69]
	v_add_f64_e32 v[20:21], v[46:47], v[52:53]
	;; [unrolled: 1-line block ×3, first 2 shown]
	v_add_f64_e64 v[58:59], v[50:51], -v[58:59]
	s_delay_alu instid0(VALU_DEP_3) | instskip(SKIP_2) | instid1(VALU_DEP_3)
	v_add_f64_e32 v[30:31], v[20:21], v[64:65]
	v_add_f64_e32 v[20:21], v[24:25], v[28:29]
	v_add_f64_e64 v[24:25], v[24:25], -v[28:29]
	v_add_f64_e32 v[22:23], v[26:27], v[30:31]
	v_add_f64_e64 v[26:27], v[26:27], -v[30:31]
	ds_load_b128 v[28:31], v216 offset:960
	s_wait_dscnt 0x0
	v_fma_f64 v[168:169], v[32:33], -0.5, v[28:29]
	v_add_f64_e32 v[32:33], v[70:71], v[78:79]
	v_add_f64_e32 v[28:29], v[28:29], v[66:67]
	s_delay_alu instid0(VALU_DEP_2) | instskip(SKIP_2) | instid1(VALU_DEP_4)
	v_fma_f64 v[170:171], v[32:33], -0.5, v[30:31]
	v_add_f64_e32 v[32:33], v[60:61], v[74:75]
	v_add_f64_e32 v[30:31], v[30:31], v[70:71]
	;; [unrolled: 1-line block ×3, first 2 shown]
	v_add_f64_e64 v[70:71], v[70:71], -v[78:79]
	v_add_f64_e64 v[76:77], v[66:67], -v[76:77]
	v_add_f64_e32 v[36:37], v[32:33], v[82:83]
	v_add_f64_e32 v[32:33], v[62:63], v[72:73]
	;; [unrolled: 1-line block ×3, first 2 shown]
	s_delay_alu instid0(VALU_DEP_2) | instskip(NEXT) | instid1(VALU_DEP_4)
	v_add_f64_e32 v[38:39], v[32:33], v[80:81]
	v_add_f64_e32 v[32:33], v[28:29], v[36:37]
	v_add_f64_e64 v[28:29], v[28:29], -v[36:37]
	s_delay_alu instid0(VALU_DEP_3)
	v_add_f64_e32 v[34:35], v[30:31], v[38:39]
	v_add_f64_e64 v[30:31], v[30:31], -v[38:39]
	ds_load_b128 v[36:39], v216 offset:1920
	s_wait_dscnt 0x0
	v_fma_f64 v[172:173], v[40:41], -0.5, v[36:37]
	v_add_f64_e32 v[40:41], v[90:91], v[98:99]
	v_add_f64_e32 v[36:37], v[36:37], v[88:89]
	v_add_f64_e64 v[88:89], v[88:89], -v[96:97]
	s_delay_alu instid0(VALU_DEP_3) | instskip(NEXT) | instid1(VALU_DEP_3)
	v_fma_f64 v[174:175], v[40:41], -0.5, v[38:39]
	v_add_f64_e32 v[40:41], v[36:37], v[96:97]
	v_add_f64_e32 v[36:37], v[84:85], v[94:95]
	;; [unrolled: 1-line block ×3, first 2 shown]
	v_add_f64_e64 v[90:91], v[90:91], -v[98:99]
	s_delay_alu instid0(VALU_DEP_3) | instskip(SKIP_1) | instid1(VALU_DEP_4)
	v_add_f64_e32 v[156:157], v[36:37], v[108:109]
	v_add_f64_e32 v[36:37], v[86:87], v[92:93]
	;; [unrolled: 1-line block ×3, first 2 shown]
	v_fma_f64 v[98:99], v[88:89], s[2:3], v[174:175]
	v_fma_f64 v[96:97], v[90:91], s[10:11], v[172:173]
	v_fma_f64 v[90:91], v[90:91], s[2:3], v[172:173]
	v_add_f64_e32 v[158:159], v[36:37], v[104:105]
	v_add_f64_e32 v[36:37], v[40:41], v[156:157]
	v_add_f64_e64 v[40:41], v[40:41], -v[156:157]
	s_delay_alu instid0(VALU_DEP_3)
	v_add_f64_e32 v[38:39], v[42:43], v[158:159]
	v_add_f64_e64 v[42:43], v[42:43], -v[158:159]
	ds_load_b128 v[156:159], v216 offset:2880
	s_wait_dscnt 0x0
	v_fma_f64 v[176:177], v[176:177], -0.5, v[156:157]
	v_add_f64_e32 v[156:157], v[156:157], v[106:107]
	v_fma_f64 v[178:179], v[178:179], -0.5, v[158:159]
	v_add_f64_e32 v[158:159], v[158:159], v[110:111]
	v_add_f64_e64 v[106:107], v[106:107], -v[116:117]
	s_delay_alu instid0(VALU_DEP_4) | instskip(SKIP_1) | instid1(VALU_DEP_4)
	v_add_f64_e32 v[180:181], v[156:157], v[116:117]
	v_add_f64_e32 v[156:157], v[100:101], v[114:115]
	;; [unrolled: 1-line block ×3, first 2 shown]
	v_add_f64_e64 v[116:117], v[134:135], -v[150:151]
	s_delay_alu instid0(VALU_DEP_3) | instskip(SKIP_1) | instid1(VALU_DEP_2)
	v_add_f64_e32 v[222:223], v[156:157], v[122:123]
	v_add_f64_e32 v[156:157], v[102:103], v[112:113]
	v_add_f64_e64 v[244:245], v[180:181], -v[222:223]
	s_delay_alu instid0(VALU_DEP_2) | instskip(SKIP_2) | instid1(VALU_DEP_3)
	v_add_f64_e32 v[224:225], v[156:157], v[120:121]
	v_add_f64_e32 v[156:157], v[180:181], v[222:223]
	;; [unrolled: 1-line block ×4, first 2 shown]
	v_add_f64_e64 v[246:247], v[220:221], -v[224:225]
	v_add_f64_e32 v[224:225], v[130:131], v[138:139]
	ds_load_b128 v[220:223], v216 offset:3840
	s_wait_dscnt 0x0
	v_fma_f64 v[180:181], v[180:181], -0.5, v[220:221]
	v_add_f64_e32 v[220:221], v[220:221], v[128:129]
	v_fma_f64 v[236:237], v[224:225], -0.5, v[222:223]
	v_add_f64_e32 v[224:225], v[124:125], v[134:135]
	v_add_f64_e32 v[222:223], v[222:223], v[130:131]
	s_delay_alu instid0(VALU_DEP_4) | instskip(NEXT) | instid1(VALU_DEP_3)
	v_add_f64_e32 v[220:221], v[220:221], v[136:137]
	v_add_f64_e32 v[224:225], v[224:225], v[150:151]
	s_delay_alu instid0(VALU_DEP_3) | instskip(NEXT) | instid1(VALU_DEP_2)
	v_add_f64_e32 v[222:223], v[222:223], v[138:139]
	v_add_f64_e32 v[248:249], v[220:221], v[224:225]
	v_add_f64_e64 v[252:253], v[220:221], -v[224:225]
	v_add_f64_e32 v[224:225], v[144:145], v[228:229]
	s_delay_alu instid0(VALU_DEP_4)
	v_add_f64_e32 v[250:251], v[222:223], v[226:227]
	v_add_f64_e64 v[254:255], v[222:223], -v[226:227]
	ds_load_b128 v[220:223], v216 offset:4800
	s_wait_dscnt 0x0
	v_fma_f64 v[240:241], v[224:225], -0.5, v[220:221]
	v_add_f64_e32 v[224:225], v[148:149], v[230:231]
	v_add_f64_e32 v[220:221], v[220:221], v[144:145]
	s_delay_alu instid0(VALU_DEP_2) | instskip(SKIP_2) | instid1(VALU_DEP_4)
	v_fma_f64 v[242:243], v[224:225], -0.5, v[222:223]
	v_add_f64_e32 v[224:225], v[140:141], v[154:155]
	v_add_f64_e32 v[222:223], v[222:223], v[148:149]
	v_add_f64_e32 v[220:221], v[220:221], v[228:229]
	s_delay_alu instid0(VALU_DEP_3) | instskip(SKIP_1) | instid1(VALU_DEP_4)
	v_add_f64_e32 v[238:239], v[224:225], v[234:235]
	v_add_f64_e32 v[224:225], v[142:143], v[152:153]
	;; [unrolled: 1-line block ×3, first 2 shown]
	s_delay_alu instid0(VALU_DEP_2) | instskip(NEXT) | instid1(VALU_DEP_4)
	v_add_f64_e32 v[182:183], v[224:225], v[232:233]
	v_add_f64_e32 v[224:225], v[220:221], v[238:239]
	v_add_f64_e64 v[220:221], v[220:221], -v[238:239]
	v_fma_f64 v[238:239], v[56:57], s[2:3], v[166:167]
	s_delay_alu instid0(VALU_DEP_4)
	v_add_f64_e32 v[226:227], v[222:223], v[182:183]
	v_add_f64_e64 v[222:223], v[222:223], -v[182:183]
	v_add_f64_e32 v[182:183], v[54:55], v[68:69]
	v_add_f64_e64 v[54:55], v[54:55], -v[68:69]
	;; [unrolled: 2-line block ×3, first 2 shown]
	s_delay_alu instid0(VALU_DEP_4) | instskip(SKIP_1) | instid1(VALU_DEP_4)
	v_fma_f64 v[64:65], v[182:183], -0.5, v[44:45]
	v_fma_f64 v[182:183], v[58:59], s[10:11], v[160:161]
	v_fma_f64 v[68:69], v[68:69], -0.5, v[46:47]
	v_fma_f64 v[58:59], v[58:59], s[2:3], v[160:161]
	s_delay_alu instid0(VALU_DEP_4) | instskip(SKIP_1) | instid1(VALU_DEP_4)
	v_fma_f64 v[46:47], v[52:53], s[10:11], v[64:65]
	v_fma_f64 v[52:53], v[52:53], s[2:3], v[64:65]
	;; [unrolled: 1-line block ×5, first 2 shown]
	s_delay_alu instid0(VALU_DEP_4) | instskip(NEXT) | instid1(VALU_DEP_4)
	v_mul_f64_e32 v[56:57], -0.5, v[52:53]
	v_mul_f64_e32 v[48:49], s[10:11], v[44:45]
	s_delay_alu instid0(VALU_DEP_2) | instskip(SKIP_1) | instid1(VALU_DEP_3)
	v_fma_f64 v[56:57], v[54:55], s[10:11], v[56:57]
	v_mul_f64_e32 v[54:55], -0.5, v[54:55]
	v_fma_f64 v[48:49], v[46:47], 0.5, v[48:49]
	v_mul_f64_e32 v[46:47], s[2:3], v[46:47]
	s_delay_alu instid0(VALU_DEP_3) | instskip(SKIP_2) | instid1(VALU_DEP_4)
	v_fma_f64 v[68:69], v[52:53], s[2:3], v[54:55]
	v_add_f64_e32 v[52:53], v[58:59], v[56:57]
	v_add_f64_e64 v[56:57], v[58:59], -v[56:57]
	v_fma_f64 v[50:51], v[44:45], 0.5, v[46:47]
	v_add_f64_e32 v[44:45], v[182:183], v[48:49]
	v_add_f64_e64 v[48:49], v[182:183], -v[48:49]
	v_add_f64_e32 v[54:55], v[64:65], v[68:69]
	v_add_f64_e64 v[58:59], v[64:65], -v[68:69]
	;; [unrolled: 2-line block ×4, first 2 shown]
	v_fma_f64 v[80:81], v[70:71], s[10:11], v[168:169]
	v_fma_f64 v[82:83], v[76:77], s[2:3], v[170:171]
	;; [unrolled: 1-line block ×3, first 2 shown]
	v_add_f64_e32 v[46:47], v[238:239], v[50:51]
	v_add_f64_e64 v[50:51], v[238:239], -v[50:51]
	v_fma_f64 v[78:79], v[64:65], -0.5, v[60:61]
	v_fma_f64 v[74:75], v[74:75], -0.5, v[62:63]
	s_delay_alu instid0(VALU_DEP_2) | instskip(SKIP_1) | instid1(VALU_DEP_3)
	v_fma_f64 v[62:63], v[72:73], s[10:11], v[78:79]
	v_fma_f64 v[72:73], v[72:73], s[2:3], v[78:79]
	;; [unrolled: 1-line block ×5, first 2 shown]
	s_delay_alu instid0(VALU_DEP_4) | instskip(NEXT) | instid1(VALU_DEP_4)
	v_mul_f64_e32 v[70:71], -0.5, v[72:73]
	v_mul_f64_e32 v[64:65], s[10:11], v[60:61]
	s_delay_alu instid0(VALU_DEP_2) | instskip(NEXT) | instid1(VALU_DEP_2)
	v_fma_f64 v[74:75], v[68:69], s[10:11], v[70:71]
	v_fma_f64 v[64:65], v[62:63], 0.5, v[64:65]
	v_mul_f64_e32 v[62:63], s[2:3], v[62:63]
	v_mul_f64_e32 v[68:69], -0.5, v[68:69]
	s_delay_alu instid0(VALU_DEP_2) | instskip(NEXT) | instid1(VALU_DEP_4)
	v_fma_f64 v[66:67], v[60:61], 0.5, v[62:63]
	v_add_f64_e32 v[60:61], v[80:81], v[64:65]
	v_add_f64_e64 v[64:65], v[80:81], -v[64:65]
	s_delay_alu instid0(VALU_DEP_4)
	v_fma_f64 v[80:81], v[72:73], s[2:3], v[68:69]
	v_add_f64_e32 v[68:69], v[78:79], v[74:75]
	v_add_f64_e64 v[72:73], v[78:79], -v[74:75]
	v_add_f64_e32 v[78:79], v[92:93], v[104:105]
	v_add_f64_e64 v[92:93], v[92:93], -v[104:105]
	v_add_f64_e64 v[104:105], v[114:115], -v[122:123]
	v_add_f64_e32 v[62:63], v[82:83], v[66:67]
	v_add_f64_e64 v[66:67], v[82:83], -v[66:67]
	v_add_f64_e32 v[70:71], v[76:77], v[80:81]
	v_add_f64_e64 v[74:75], v[76:77], -v[80:81]
	v_add_f64_e32 v[76:77], v[94:95], v[108:109]
	v_add_f64_e64 v[94:95], v[94:95], -v[108:109]
	v_fma_f64 v[86:87], v[78:79], -0.5, v[86:87]
	v_add_f64_e64 v[108:109], v[110:111], -v[118:119]
	v_add_f64_e64 v[110:111], v[112:113], -v[120:121]
	v_fma_f64 v[84:85], v[76:77], -0.5, v[84:85]
	s_delay_alu instid0(VALU_DEP_4) | instskip(SKIP_1) | instid1(VALU_DEP_3)
	v_fma_f64 v[76:77], v[94:95], s[2:3], v[86:87]
	v_fma_f64 v[86:87], v[94:95], s[10:11], v[86:87]
	;; [unrolled: 1-line block ×5, first 2 shown]
	v_mul_f64_e32 v[80:81], s[10:11], v[76:77]
	s_delay_alu instid0(VALU_DEP_3) | instskip(NEXT) | instid1(VALU_DEP_2)
	v_mul_f64_e32 v[88:89], -0.5, v[84:85]
	v_fma_f64 v[80:81], v[78:79], 0.5, v[80:81]
	v_mul_f64_e32 v[78:79], s[2:3], v[78:79]
	s_delay_alu instid0(VALU_DEP_3) | instskip(SKIP_1) | instid1(VALU_DEP_3)
	v_fma_f64 v[88:89], v[86:87], s[10:11], v[88:89]
	v_mul_f64_e32 v[86:87], -0.5, v[86:87]
	v_fma_f64 v[82:83], v[76:77], 0.5, v[78:79]
	v_add_f64_e32 v[76:77], v[96:97], v[80:81]
	v_add_f64_e64 v[80:81], v[96:97], -v[80:81]
	s_delay_alu instid0(VALU_DEP_4)
	v_fma_f64 v[94:95], v[84:85], s[2:3], v[86:87]
	v_add_f64_e32 v[84:85], v[90:91], v[88:89]
	v_add_f64_e64 v[88:89], v[90:91], -v[88:89]
	v_add_f64_e32 v[78:79], v[98:99], v[82:83]
	v_add_f64_e64 v[82:83], v[98:99], -v[82:83]
	;; [unrolled: 2-line block ×3, first 2 shown]
	v_add_f64_e32 v[92:93], v[114:115], v[122:123]
	v_add_f64_e32 v[94:95], v[112:113], v[120:121]
	v_fma_f64 v[112:113], v[108:109], s[10:11], v[176:177]
	v_fma_f64 v[114:115], v[106:107], s[2:3], v[178:179]
	v_fma_f64 v[108:109], v[108:109], s[2:3], v[176:177]
	v_fma_f64 v[106:107], v[106:107], s[10:11], v[178:179]
	v_add_f64_e64 v[120:121], v[130:131], -v[138:139]
	v_add_f64_e64 v[122:123], v[128:129], -v[136:137]
	v_fma_f64 v[100:101], v[92:93], -0.5, v[100:101]
	v_fma_f64 v[102:103], v[94:95], -0.5, v[102:103]
	s_delay_alu instid0(VALU_DEP_4) | instskip(NEXT) | instid1(VALU_DEP_4)
	v_fma_f64 v[128:129], v[120:121], s[10:11], v[180:181]
	v_fma_f64 v[130:131], v[122:123], s[2:3], v[236:237]
	;; [unrolled: 1-line block ×8, first 2 shown]
	s_delay_alu instid0(VALU_DEP_3) | instskip(NEXT) | instid1(VALU_DEP_3)
	v_mul_f64_e32 v[104:105], -0.5, v[100:101]
	v_mul_f64_e32 v[96:97], s[10:11], v[92:93]
	s_delay_alu instid0(VALU_DEP_2) | instskip(SKIP_1) | instid1(VALU_DEP_3)
	v_fma_f64 v[104:105], v[102:103], s[10:11], v[104:105]
	v_mul_f64_e32 v[102:103], -0.5, v[102:103]
	v_fma_f64 v[96:97], v[94:95], 0.5, v[96:97]
	v_mul_f64_e32 v[94:95], s[2:3], v[94:95]
	s_delay_alu instid0(VALU_DEP_3)
	v_fma_f64 v[110:111], v[100:101], s[2:3], v[102:103]
	v_add_f64_e32 v[100:101], v[108:109], v[104:105]
	v_add_f64_e64 v[104:105], v[108:109], -v[104:105]
	v_add_f64_e32 v[108:109], v[134:135], v[150:151]
	v_fma_f64 v[98:99], v[92:93], 0.5, v[94:95]
	v_add_f64_e32 v[92:93], v[112:113], v[96:97]
	v_add_f64_e64 v[96:97], v[112:113], -v[96:97]
	v_add_f64_e64 v[134:135], v[152:153], -v[232:233]
	v_add_f64_e32 v[102:103], v[106:107], v[110:111]
	v_add_f64_e64 v[106:107], v[106:107], -v[110:111]
	v_add_f64_e32 v[110:111], v[132:133], v[146:147]
	v_fma_f64 v[124:125], v[108:109], -0.5, v[124:125]
	v_add_f64_e32 v[94:95], v[114:115], v[98:99]
	v_add_f64_e64 v[98:99], v[114:115], -v[98:99]
	s_delay_alu instid0(VALU_DEP_4) | instskip(SKIP_2) | instid1(VALU_DEP_3)
	v_fma_f64 v[118:119], v[110:111], -0.5, v[126:127]
	v_add_f64_e64 v[126:127], v[132:133], -v[146:147]
	v_add_f64_e64 v[132:133], v[144:145], -v[228:229]
	v_fma_f64 v[108:109], v[116:117], s[2:3], v[118:119]
	s_delay_alu instid0(VALU_DEP_3) | instskip(SKIP_2) | instid1(VALU_DEP_4)
	v_fma_f64 v[110:111], v[126:127], s[10:11], v[124:125]
	v_fma_f64 v[124:125], v[126:127], s[2:3], v[124:125]
	;; [unrolled: 1-line block ×3, first 2 shown]
	v_mul_f64_e32 v[112:113], s[10:11], v[108:109]
	s_delay_alu instid0(VALU_DEP_3) | instskip(NEXT) | instid1(VALU_DEP_2)
	v_mul_f64_e32 v[118:119], -0.5, v[124:125]
	v_fma_f64 v[112:113], v[110:111], 0.5, v[112:113]
	v_mul_f64_e32 v[110:111], s[2:3], v[110:111]
	s_delay_alu instid0(VALU_DEP_3) | instskip(SKIP_1) | instid1(VALU_DEP_3)
	v_fma_f64 v[126:127], v[116:117], s[10:11], v[118:119]
	v_mul_f64_e32 v[116:117], -0.5, v[116:117]
	v_fma_f64 v[114:115], v[108:109], 0.5, v[110:111]
	v_add_f64_e32 v[108:109], v[128:129], v[112:113]
	s_delay_alu instid0(VALU_DEP_3)
	v_fma_f64 v[124:125], v[124:125], s[2:3], v[116:117]
	v_add_f64_e64 v[112:113], v[128:129], -v[112:113]
	v_add_f64_e32 v[128:129], v[152:153], v[232:233]
	v_add_f64_e32 v[116:117], v[120:121], v[126:127]
	v_add_f64_e64 v[120:121], v[120:121], -v[126:127]
	v_add_f64_e64 v[126:127], v[154:155], -v[234:235]
	v_add_f64_e32 v[110:111], v[130:131], v[114:115]
	v_add_f64_e64 v[114:115], v[130:131], -v[114:115]
	v_add_f64_e32 v[118:119], v[122:123], v[124:125]
	;; [unrolled: 2-line block ×3, first 2 shown]
	v_fma_f64 v[128:129], v[128:129], -0.5, v[142:143]
	v_add_f64_e64 v[130:131], v[148:149], -v[230:231]
	v_fma_f64 v[142:143], v[132:133], s[2:3], v[242:243]
	v_fma_f64 v[132:133], v[132:133], s[10:11], v[242:243]
	v_fma_f64 v[124:125], v[124:125], -0.5, v[140:141]
	v_fma_f64 v[136:137], v[126:127], s[2:3], v[128:129]
	v_fma_f64 v[126:127], v[126:127], s[10:11], v[128:129]
	s_delay_alu instid0(VALU_DEP_3) | instskip(SKIP_1) | instid1(VALU_DEP_4)
	v_fma_f64 v[138:139], v[134:135], s[10:11], v[124:125]
	v_fma_f64 v[124:125], v[134:135], s[2:3], v[124:125]
	v_mul_f64_e32 v[140:141], s[10:11], v[136:137]
	s_delay_alu instid0(VALU_DEP_2) | instskip(NEXT) | instid1(VALU_DEP_2)
	v_mul_f64_e32 v[128:129], -0.5, v[124:125]
	v_fma_f64 v[140:141], v[138:139], 0.5, v[140:141]
	v_mul_f64_e32 v[138:139], s[2:3], v[138:139]
	s_delay_alu instid0(VALU_DEP_3) | instskip(SKIP_1) | instid1(VALU_DEP_3)
	v_fma_f64 v[128:129], v[126:127], s[10:11], v[128:129]
	v_mul_f64_e32 v[126:127], -0.5, v[126:127]
	v_fma_f64 v[136:137], v[136:137], 0.5, v[138:139]
	v_fma_f64 v[138:139], v[130:131], s[10:11], v[240:241]
	v_fma_f64 v[130:131], v[130:131], s[2:3], v[240:241]
	s_delay_alu instid0(VALU_DEP_4) | instskip(NEXT) | instid1(VALU_DEP_4)
	v_fma_f64 v[124:125], v[124:125], s[2:3], v[126:127]
	v_add_f64_e32 v[230:231], v[142:143], v[136:137]
	s_delay_alu instid0(VALU_DEP_4) | instskip(NEXT) | instid1(VALU_DEP_4)
	v_add_f64_e32 v[228:229], v[138:139], v[140:141]
	v_add_f64_e32 v[232:233], v[130:131], v[128:129]
	v_add_f64_e64 v[236:237], v[138:139], -v[140:141]
	v_add_f64_e64 v[238:239], v[142:143], -v[136:137]
	;; [unrolled: 1-line block ×3, first 2 shown]
	v_add_f64_e32 v[234:235], v[132:133], v[124:125]
	v_add_f64_e64 v[242:243], v[132:133], -v[124:125]
	ds_store_b128 v216, v[32:35] offset:960
	ds_store_b128 v216, v[36:39] offset:1920
	;; [unrolled: 1-line block ×8, first 2 shown]
	ds_store_b128 v216, v[20:23]
	ds_store_b128 v216, v[24:27] offset:17280
	ds_store_b128 v216, v[52:55] offset:11520
	;; [unrolled: 1-line block ×27, first 2 shown]
	global_wb scope:SCOPE_SE
	s_wait_storecnt_dscnt 0x0
	s_barrier_signal -1
	s_barrier_wait -1
	global_inv scope:SCOPE_SE
	scratch_load_b64 v[20:21], off, off offset:4 ; 8-byte Folded Reload
	ds_load_b128 v[24:27], v216
	ds_load_b128 v[178:181], v216 offset:33024
	ds_load_b128 v[42:45], v216 offset:10368
	;; [unrolled: 1-line block ×27, first 2 shown]
	s_wait_loadcnt 0x0
	global_load_b128 v[20:23], v[20:21], off offset:34560
	s_wait_loadcnt_dscnt 0x1b
	v_mul_f64_e32 v[28:29], v[26:27], v[22:23]
	v_mul_f64_e32 v[30:31], v[24:25], v[22:23]
	s_delay_alu instid0(VALU_DEP_2) | instskip(NEXT) | instid1(VALU_DEP_2)
	v_fma_f64 v[22:23], v[24:25], v[20:21], -v[28:29]
	v_fma_f64 v[24:25], v[26:27], v[20:21], v[30:31]
	v_lshlrev_b32_e32 v20, 4, v215
	ds_load_b128 v[30:33], v216 offset:3456
	global_load_b128 v[26:29], v20, s[0:1] offset:3456
	s_wait_loadcnt_dscnt 0x0
	v_mul_f64_e32 v[34:35], v[32:33], v[28:29]
	v_mul_f64_e32 v[36:37], v[30:31], v[28:29]
	s_delay_alu instid0(VALU_DEP_2) | instskip(NEXT) | instid1(VALU_DEP_2)
	v_fma_f64 v[28:29], v[30:31], v[26:27], -v[34:35]
	v_fma_f64 v[30:31], v[32:33], v[26:27], v[36:37]
	global_load_b128 v[32:35], v20, s[0:1] offset:6912
	ds_load_b128 v[36:39], v216 offset:6912
	s_wait_loadcnt_dscnt 0x0
	v_mul_f64_e32 v[26:27], v[38:39], v[34:35]
	v_mul_f64_e32 v[40:41], v[36:37], v[34:35]
	s_delay_alu instid0(VALU_DEP_2) | instskip(NEXT) | instid1(VALU_DEP_2)
	v_fma_f64 v[34:35], v[36:37], v[32:33], -v[26:27]
	v_fma_f64 v[36:37], v[38:39], v[32:33], v[40:41]
	global_load_b128 v[38:41], v20, s[0:1] offset:10368
	s_wait_loadcnt 0x0
	v_mul_f64_e32 v[26:27], v[44:45], v[40:41]
	v_mul_f64_e32 v[32:33], v[42:43], v[40:41]
	s_delay_alu instid0(VALU_DEP_2) | instskip(NEXT) | instid1(VALU_DEP_2)
	v_fma_f64 v[40:41], v[42:43], v[38:39], -v[26:27]
	v_fma_f64 v[42:43], v[44:45], v[38:39], v[32:33]
	global_load_b128 v[44:47], v20, s[0:1] offset:13824
	s_wait_loadcnt 0x0
	;; [unrolled: 7-line block ×27, first 2 shown]
	v_mul_f64_e32 v[26:27], v[180:181], v[160:161]
	v_mul_f64_e32 v[32:33], v[178:179], v[160:161]
	s_delay_alu instid0(VALU_DEP_2) | instskip(NEXT) | instid1(VALU_DEP_2)
	v_fma_f64 v[178:179], v[178:179], v[158:159], -v[26:27]
	v_fma_f64 v[180:181], v[180:181], v[158:159], v[32:33]
	ds_store_b128 v216, v[28:31] offset:3456
	ds_store_b128 v216, v[88:91] offset:4416
	;; [unrolled: 1-line block ×28, first 2 shown]
	ds_store_b128 v216, v[22:25]
	ds_store_b128 v216, v[178:181] offset:33024
	s_and_saveexec_b32 s2, vcc_lo
	s_cbranch_execz .LBB0_9
; %bb.8:
	s_wait_alu 0xfffe
	v_add_co_u32 v56, s0, s0, v20
	s_wait_alu 0xf1ff
	v_add_co_ci_u32_e64 v57, null, s1, 0, s0
	s_clause 0x9
	global_load_b128 v[20:23], v[56:57], off offset:2880
	global_load_b128 v[24:27], v[56:57], off offset:6336
	;; [unrolled: 1-line block ×10, first 2 shown]
	ds_load_b128 v[60:63], v216 offset:2880
	ds_load_b128 v[64:67], v216 offset:6336
	ds_load_b128 v[68:71], v216 offset:9792
	ds_load_b128 v[72:75], v216 offset:13248
	ds_load_b128 v[76:79], v216 offset:16704
	ds_load_b128 v[80:83], v216 offset:20160
	ds_load_b128 v[84:87], v216 offset:23616
	ds_load_b128 v[88:91], v216 offset:27072
	ds_load_b128 v[92:95], v216 offset:30528
	ds_load_b128 v[96:99], v216 offset:33984
	s_wait_loadcnt_dscnt 0x909
	v_mul_f64_e32 v[100:101], v[62:63], v[22:23]
	v_mul_f64_e32 v[22:23], v[60:61], v[22:23]
	s_wait_loadcnt_dscnt 0x808
	v_mul_f64_e32 v[102:103], v[66:67], v[26:27]
	v_mul_f64_e32 v[26:27], v[64:65], v[26:27]
	;; [unrolled: 3-line block ×8, first 2 shown]
	v_fma_f64 v[60:61], v[60:61], v[20:21], -v[100:101]
	v_mul_f64_e32 v[100:101], v[90:91], v[50:51]
	v_mul_f64_e32 v[50:51], v[88:89], v[50:51]
	v_fma_f64 v[62:63], v[62:63], v[20:21], v[22:23]
	v_fma_f64 v[20:21], v[64:65], v[24:25], -v[102:103]
	s_wait_loadcnt_dscnt 0x0
	v_mul_f64_e32 v[64:65], v[98:99], v[58:59]
	v_mul_f64_e32 v[58:59], v[96:97], v[58:59]
	v_fma_f64 v[22:23], v[66:67], v[24:25], v[26:27]
	v_fma_f64 v[24:25], v[68:69], v[28:29], -v[104:105]
	v_fma_f64 v[26:27], v[70:71], v[28:29], v[30:31]
	v_fma_f64 v[28:29], v[72:73], v[32:33], -v[106:107]
	;; [unrolled: 2-line block ×8, first 2 shown]
	v_fma_f64 v[54:55], v[98:99], v[56:57], v[58:59]
	ds_store_b128 v216, v[20:23] offset:6336
	ds_store_b128 v216, v[24:27] offset:9792
	;; [unrolled: 1-line block ×10, first 2 shown]
.LBB0_9:
	s_wait_alu 0xfffe
	s_or_b32 exec_lo, exec_lo, s2
	global_wb scope:SCOPE_SE
	s_wait_dscnt 0x0
	s_barrier_signal -1
	s_barrier_wait -1
	global_inv scope:SCOPE_SE
	ds_load_b128 v[48:51], v216 offset:3456
	ds_load_b128 v[52:55], v216 offset:4416
	;; [unrolled: 1-line block ×28, first 2 shown]
	ds_load_b128 v[72:75], v216
	ds_load_b128 v[24:27], v216 offset:33024
	s_and_saveexec_b32 s0, vcc_lo
	s_cbranch_execz .LBB0_11
; %bb.10:
	ds_load_b128 v[228:231], v216 offset:6336
	ds_load_b128 v[232:235], v216 offset:9792
	ds_load_b128 v[220:223], v216 offset:13248
	ds_load_b128 v[236:239], v216 offset:16704
	ds_load_b128 v[240:243], v216 offset:20160
	ds_load_b128 v[128:131], v216 offset:23616
	s_wait_dscnt 0x0
	scratch_store_b128 off, v[128:131], off offset:12 ; 16-byte Folded Spill
	ds_load_b128 v[128:131], v216 offset:27072
	s_wait_dscnt 0x0
	scratch_store_b128 off, v[128:131], off offset:44 ; 16-byte Folded Spill
	ds_load_b128 v[128:131], v216 offset:30528
	;; [unrolled: 3-line block ×3, first 2 shown]
	ds_load_b128 v[128:131], v216 offset:33984
	s_wait_dscnt 0x0
	scratch_store_b128 off, v[128:131], off offset:60 ; 16-byte Folded Spill
.LBB0_11:
	s_wait_alu 0xfffe
	s_or_b32 exec_lo, exec_lo, s0
	s_wait_dscnt 0x1
	v_add_f64_e32 v[128:129], v[72:73], v[112:113]
	v_add_f64_e64 v[134:135], v[112:113], -v[124:125]
	v_add_f64_e64 v[138:139], v[114:115], -v[126:127]
	v_add_f64_e32 v[142:143], v[114:115], v[122:123]
	v_add_f64_e32 v[132:133], v[124:125], v[116:117]
	;; [unrolled: 1-line block ×5, first 2 shown]
	v_add_f64_e64 v[174:175], v[104:105], -v[100:101]
	v_add_f64_e32 v[166:167], v[110:111], v[102:103]
	v_add_f64_e64 v[168:169], v[98:99], -v[110:111]
	v_add_f64_e64 v[170:171], v[110:111], -v[98:99]
	;; [unrolled: 1-line block ×3, first 2 shown]
	v_add_f64_e32 v[178:179], v[92:93], v[84:85]
	v_add_f64_e64 v[180:181], v[80:81], -v[92:93]
	v_add_f64_e64 v[182:183], v[92:93], -v[80:81]
	v_add_f64_e32 v[218:219], v[94:95], v[86:87]
	v_add_f64_e64 v[184:185], v[82:83], -v[94:95]
	v_add_f64_e64 v[186:187], v[94:95], -v[82:83]
	;; [unrolled: 1-line block ×18, first 2 shown]
	s_mov_b32 s14, 0x134454ff
	s_mov_b32 s15, 0xbfee6f0e
	;; [unrolled: 1-line block ×3, first 2 shown]
	v_add_f64_e32 v[130:131], v[128:129], v[124:125]
	v_add_f64_e32 v[128:129], v[74:75], v[114:115]
	scratch_store_b64 off, v[134:135], off offset:1924 ; 8-byte Folded Spill
	v_add_f64_e64 v[134:135], v[124:125], -v[112:113]
	v_add_f64_e64 v[124:125], v[124:125], -v[116:117]
	;; [unrolled: 1-line block ×3, first 2 shown]
	v_fma_f64 v[144:145], v[144:145], -0.5, v[48:49]
	v_fma_f64 v[172:173], v[172:173], -0.5, v[48:49]
	s_wait_alu 0xfffe
	s_mov_b32 s2, s14
	v_fma_f64 v[166:167], v[166:167], -0.5, v[50:51]
	s_mov_b32 s16, 0x4755a5e
	s_mov_b32 s17, 0xbfe2cf23
	;; [unrolled: 1-line block ×3, first 2 shown]
	s_wait_alu 0xfffe
	s_mov_b32 s10, s16
	v_fma_f64 v[214:215], v[142:143], -0.5, v[74:75]
	s_mov_b32 s0, 0x372fe950
	s_mov_b32 s1, 0x3fd3c6ef
	;; [unrolled: 1-line block ×5, first 2 shown]
	s_wait_alu 0xfffe
	s_mov_b32 s18, s0
	s_mov_b32 s21, 0xbfe9e377
	;; [unrolled: 1-line block ×3, first 2 shown]
	scratch_store_b64 off, v[138:139], off offset:1932 ; 8-byte Folded Spill
	v_add_f64_e32 v[136:137], v[128:129], v[126:127]
	v_add_f64_e64 v[128:129], v[126:127], -v[118:119]
	scratch_store_b64 off, v[134:135], off offset:1900 ; 8-byte Folded Spill
	v_add_f64_e32 v[134:135], v[126:127], v[118:119]
	v_add_f64_e64 v[126:127], v[126:127], -v[114:115]
	v_add_f64_e32 v[138:139], v[136:137], v[118:119]
	s_delay_alu instid0(VALU_DEP_3)
	v_fma_f64 v[212:213], v[134:135], -0.5, v[74:75]
	scratch_store_b64 off, v[126:127], off offset:1908 ; 8-byte Folded Spill
	v_add_f64_e64 v[126:127], v[114:115], -v[122:123]
	v_add_f64_e32 v[114:115], v[130:131], v[116:117]
	v_add_f64_e64 v[130:131], v[120:121], -v[116:117]
	v_add_f64_e64 v[116:117], v[116:117], -v[120:121]
	v_fma_f64 v[134:135], v[218:219], -0.5, v[58:59]
	v_add_f64_e32 v[138:139], v[138:139], v[122:123]
	v_add_f64_e32 v[136:137], v[114:115], v[120:121]
	;; [unrolled: 1-line block ×3, first 2 shown]
	scratch_store_b64 off, v[116:117], off offset:1916 ; 8-byte Folded Spill
	v_add_f64_e64 v[116:117], v[122:123], -v[118:119]
	v_add_f64_e64 v[118:119], v[118:119], -v[122:123]
	;; [unrolled: 1-line block ×5, first 2 shown]
	v_add_f64_e32 v[146:147], v[114:115], v[108:109]
	v_add_f64_e32 v[114:115], v[50:51], v[98:99]
	v_add_f64_e64 v[108:109], v[108:109], -v[100:101]
	s_delay_alu instid0(VALU_DEP_3) | instskip(SKIP_1) | instid1(VALU_DEP_4)
	v_add_f64_e32 v[146:147], v[146:147], v[100:101]
	v_add_f64_e64 v[100:101], v[100:101], -v[104:105]
	v_add_f64_e32 v[148:149], v[114:115], v[110:111]
	v_add_f64_e64 v[114:115], v[110:111], -v[102:103]
	v_add_f64_e64 v[110:111], v[98:99], -v[106:107]
	v_add_f64_e32 v[98:99], v[98:99], v[106:107]
	v_add_f64_e32 v[104:105], v[146:147], v[104:105]
	;; [unrolled: 1-line block ×4, first 2 shown]
	v_add_f64_e64 v[102:103], v[102:103], -v[106:107]
	v_fma_f64 v[98:99], v[98:99], -0.5, v[50:51]
	s_delay_alu instid0(VALU_DEP_4)
	v_add_f64_e32 v[154:155], v[146:147], v[92:93]
	v_add_f64_e32 v[146:147], v[58:59], v[82:83]
	;; [unrolled: 1-line block ×3, first 2 shown]
	v_add_f64_e64 v[148:149], v[92:93], -v[84:85]
	v_add_f64_e32 v[92:93], v[80:81], v[88:89]
	v_add_f64_e32 v[80:81], v[82:83], v[90:91]
	;; [unrolled: 1-line block ×4, first 2 shown]
	v_add_f64_e64 v[146:147], v[94:95], -v[86:87]
	v_add_f64_e64 v[154:155], v[78:79], -v[62:63]
	v_fma_f64 v[218:219], v[80:81], -0.5, v[58:59]
	v_add_f64_e64 v[58:59], v[138:139], -v[106:107]
	v_add_f64_e32 v[82:83], v[82:83], v[88:89]
	v_add_f64_e32 v[94:95], v[156:157], v[86:87]
	;; [unrolled: 1-line block ×4, first 2 shown]
	v_add_f64_e64 v[156:157], v[76:77], -v[60:61]
	s_delay_alu instid0(VALU_DEP_4) | instskip(NEXT) | instid1(VALU_DEP_4)
	v_add_f64_e32 v[84:85], v[94:95], v[90:91]
	v_add_f64_e32 v[86:87], v[86:87], v[76:77]
	s_delay_alu instid0(VALU_DEP_4)
	v_add_f64_e32 v[88:89], v[88:89], v[78:79]
	v_add_f64_e32 v[90:91], v[76:77], v[60:61]
	;; [unrolled: 1-line block ×7, first 2 shown]
	v_fma_f64 v[88:89], v[132:133], -0.5, v[72:73]
	v_fma_f64 v[162:163], v[76:77], -0.5, v[52:53]
	;; [unrolled: 1-line block ×6, first 2 shown]
	v_add_f64_e32 v[60:61], v[136:137], v[104:105]
	v_add_f64_e64 v[56:57], v[136:137], -v[104:105]
	v_add_f64_e32 v[104:105], v[168:169], v[176:177]
	v_add_f64_e32 v[94:95], v[120:121], v[100:101]
	;; [unrolled: 1-line block ×6, first 2 shown]
	s_wait_dscnt 0x0
	v_add_f64_e64 v[196:197], v[24:25], -v[20:21]
	v_add_f64_e64 v[200:201], v[26:27], -v[22:23]
	v_add_f64_e32 v[64:65], v[70:71], v[64:65]
	v_add_f64_e32 v[66:67], v[78:79], v[66:67]
	v_fma_f64 v[78:79], v[140:141], -0.5, v[72:73]
	v_fma_f64 v[140:141], v[90:91], -0.5, v[52:53]
	v_add_f64_e32 v[90:91], v[122:123], v[174:175]
	v_fma_f64 v[70:71], v[112:113], s[2:3], v[212:213]
	v_add_f64_e32 v[174:175], v[34:35], v[42:43]
	v_add_f64_e32 v[48:49], v[82:83], v[64:65]
	v_add_f64_e64 v[52:53], v[82:83], -v[64:65]
	scratch_load_b64 v[64:65], off, off offset:1924 th:TH_LOAD_LU ; 8-byte Folded Reload
	v_add_f64_e32 v[50:51], v[84:85], v[66:67]
	v_add_f64_e64 v[54:55], v[84:85], -v[66:67]
	v_fma_f64 v[66:67], v[110:111], s[14:15], v[144:145]
	v_fma_f64 v[70:71], v[124:125], s[10:11], v[70:71]
	s_delay_alu instid0(VALU_DEP_2) | instskip(NEXT) | instid1(VALU_DEP_1)
	v_fma_f64 v[66:67], v[114:115], s[16:17], v[66:67]
	v_fma_f64 v[66:67], v[90:91], s[0:1], v[66:67]
	s_wait_loadcnt 0x0
	v_add_f64_e32 v[80:81], v[64:65], v[130:131]
	scratch_load_b64 v[64:65], off, off offset:1932 th:TH_LOAD_LU ; 8-byte Folded Reload
	s_wait_loadcnt 0x0
	v_add_f64_e32 v[82:83], v[64:65], v[116:117]
	v_fma_f64 v[64:65], v[96:97], s[2:3], v[166:167]
	v_add_f64_e32 v[116:117], v[198:199], v[206:207]
	v_add_f64_e64 v[198:199], v[20:21], -v[24:25]
	s_delay_alu instid0(VALU_DEP_4) | instskip(NEXT) | instid1(VALU_DEP_4)
	v_fma_f64 v[70:71], v[82:83], s[0:1], v[70:71]
	v_fma_f64 v[64:65], v[108:109], s[10:11], v[64:65]
	s_delay_alu instid0(VALU_DEP_1) | instskip(NEXT) | instid1(VALU_DEP_1)
	v_fma_f64 v[64:65], v[104:105], s[0:1], v[64:65]
	v_mul_f64_e32 v[68:69], s[16:17], v[64:65]
	s_delay_alu instid0(VALU_DEP_1) | instskip(SKIP_1) | instid1(VALU_DEP_1)
	v_fma_f64 v[68:69], v[66:67], s[12:13], v[68:69]
	v_mul_f64_e32 v[66:67], s[10:11], v[66:67]
	v_fma_f64 v[66:67], v[64:65], s[12:13], v[66:67]
	v_fma_f64 v[64:65], v[126:127], s[14:15], v[88:89]
	;; [unrolled: 1-line block ×3, first 2 shown]
	s_delay_alu instid0(VALU_DEP_3) | instskip(NEXT) | instid1(VALU_DEP_3)
	v_add_f64_e32 v[74:75], v[70:71], v[66:67]
	v_fma_f64 v[64:65], v[128:129], s[16:17], v[64:65]
	v_add_f64_e64 v[66:67], v[70:71], -v[66:67]
	s_delay_alu instid0(VALU_DEP_4) | instskip(NEXT) | instid1(VALU_DEP_3)
	v_fma_f64 v[88:89], v[128:129], s[10:11], v[88:89]
	v_fma_f64 v[64:65], v[80:81], s[0:1], v[64:65]
	s_delay_alu instid0(VALU_DEP_2) | instskip(NEXT) | instid1(VALU_DEP_2)
	v_fma_f64 v[80:81], v[80:81], s[0:1], v[88:89]
	v_add_f64_e32 v[72:73], v[64:65], v[68:69]
	v_add_f64_e64 v[64:65], v[64:65], -v[68:69]
	s_clause 0x1
	scratch_load_b64 v[68:69], off, off offset:1900 th:TH_LOAD_LU
	scratch_load_b64 v[70:71], off, off offset:1916 th:TH_LOAD_LU
	s_wait_loadcnt 0x0
	v_add_f64_e32 v[76:77], v[68:69], v[70:71]
	scratch_load_b64 v[68:69], off, off offset:1908 th:TH_LOAD_LU ; 8-byte Folded Reload
	v_fma_f64 v[70:71], v[114:115], s[2:3], v[172:173]
	global_wb scope:SCOPE_SE
	s_wait_loadcnt 0x0
	s_wait_storecnt 0x0
	s_barrier_signal -1
	s_barrier_wait -1
	global_inv scope:SCOPE_SE
	v_fma_f64 v[70:71], v[110:111], s[16:17], v[70:71]
	s_delay_alu instid0(VALU_DEP_1) | instskip(SKIP_4) | instid1(VALU_DEP_3)
	v_fma_f64 v[70:71], v[94:95], s[0:1], v[70:71]
	v_add_f64_e32 v[92:93], v[68:69], v[118:119]
	v_fma_f64 v[68:69], v[108:109], s[14:15], v[98:99]
	v_add_f64_e32 v[118:119], v[202:203], v[210:211]
	v_add_f64_e64 v[202:203], v[22:23], -v[26:27]
	v_fma_f64 v[68:69], v[96:97], s[10:11], v[68:69]
	s_delay_alu instid0(VALU_DEP_1) | instskip(NEXT) | instid1(VALU_DEP_1)
	v_fma_f64 v[68:69], v[100:101], s[0:1], v[68:69]
	v_mul_f64_e32 v[84:85], s[14:15], v[68:69]
	v_mul_f64_e32 v[68:69], s[0:1], v[68:69]
	s_delay_alu instid0(VALU_DEP_2) | instskip(NEXT) | instid1(VALU_DEP_2)
	v_fma_f64 v[102:103], v[70:71], s[0:1], v[84:85]
	v_fma_f64 v[70:71], v[70:71], s[2:3], v[68:69]
	;; [unrolled: 1-line block ×5, first 2 shown]
	v_add_f64_e64 v[128:129], v[34:35], -v[46:47]
	s_delay_alu instid0(VALU_DEP_4) | instskip(NEXT) | instid1(VALU_DEP_4)
	v_fma_f64 v[68:69], v[126:127], s[16:17], v[68:69]
	v_fma_f64 v[78:79], v[126:127], s[10:11], v[78:79]
	s_delay_alu instid0(VALU_DEP_4) | instskip(SKIP_1) | instid1(VALU_DEP_4)
	v_fma_f64 v[84:85], v[112:113], s[10:11], v[84:85]
	v_add_f64_e64 v[126:127], v[46:47], -v[34:35]
	v_fma_f64 v[68:69], v[76:77], s[0:1], v[68:69]
	s_delay_alu instid0(VALU_DEP_4) | instskip(SKIP_2) | instid1(VALU_DEP_4)
	v_fma_f64 v[76:77], v[76:77], s[0:1], v[78:79]
	v_fma_f64 v[78:79], v[124:125], s[2:3], v[214:215]
	;; [unrolled: 1-line block ×3, first 2 shown]
	v_add_f64_e32 v[84:85], v[68:69], v[102:103]
	v_add_f64_e64 v[68:69], v[68:69], -v[102:103]
	s_delay_alu instid0(VALU_DEP_4) | instskip(NEXT) | instid1(VALU_DEP_4)
	v_fma_f64 v[78:79], v[112:113], s[16:17], v[78:79]
	v_add_f64_e32 v[86:87], v[106:107], v[70:71]
	v_add_f64_e64 v[70:71], v[106:107], -v[70:71]
	v_add_f64_e32 v[106:107], v[186:187], v[194:195]
	v_add_f64_e64 v[186:187], v[28:29], -v[20:21]
	v_add_f64_e64 v[194:195], v[252:253], -v[24:25]
	v_fma_f64 v[78:79], v[92:93], s[0:1], v[78:79]
	v_fma_f64 v[92:93], v[108:109], s[2:3], v[98:99]
	v_fma_f64 v[98:99], v[114:115], s[14:15], v[172:173]
	v_add_f64_e32 v[172:173], v[32:33], v[40:41]
	s_delay_alu instid0(VALU_DEP_3) | instskip(NEXT) | instid1(VALU_DEP_3)
	v_fma_f64 v[92:93], v[96:97], s[16:17], v[92:93]
	v_fma_f64 v[98:99], v[110:111], s[10:11], v[98:99]
	v_fma_f64 v[96:97], v[96:97], s[14:15], v[166:167]
	v_add_f64_e32 v[166:167], v[184:185], v[192:193]
	v_add_f64_e32 v[184:185], v[30:31], v[22:23]
	v_add_f64_e64 v[192:193], v[254:255], -v[26:27]
	v_fma_f64 v[92:93], v[100:101], s[0:1], v[92:93]
	v_fma_f64 v[94:95], v[94:95], s[0:1], v[98:99]
	;; [unrolled: 1-line block ×3, first 2 shown]
	s_delay_alu instid0(VALU_DEP_3) | instskip(SKIP_2) | instid1(VALU_DEP_3)
	v_mul_f64_e32 v[98:99], s[14:15], v[92:93]
	s_wait_alu 0xfffe
	v_mul_f64_e32 v[92:93], s[18:19], v[92:93]
	v_fma_f64 v[96:97], v[104:105], s[0:1], v[96:97]
	v_add_f64_e32 v[104:105], v[182:183], v[190:191]
	v_add_f64_e64 v[182:183], v[28:29], -v[252:253]
	v_add_f64_e64 v[190:191], v[30:31], -v[254:255]
	v_fma_f64 v[98:99], v[94:95], s[18:19], v[98:99]
	v_fma_f64 v[100:101], v[94:95], s[2:3], v[92:93]
	s_delay_alu instid0(VALU_DEP_2) | instskip(NEXT) | instid1(VALU_DEP_2)
	v_add_f64_e32 v[92:93], v[76:77], v[98:99]
	v_add_f64_e32 v[94:95], v[78:79], v[100:101]
	v_add_f64_e64 v[78:79], v[78:79], -v[100:101]
	v_fma_f64 v[100:101], v[110:111], s[2:3], v[144:145]
	v_add_f64_e64 v[76:77], v[76:77], -v[98:99]
	v_fma_f64 v[98:99], v[112:113], s[14:15], v[212:213]
	v_add_f64_e32 v[144:145], v[180:181], v[188:189]
	v_add_f64_e64 v[180:181], v[252:253], -v[28:29]
	v_add_f64_e64 v[188:189], v[254:255], -v[30:31]
	v_fma_f64 v[100:101], v[114:115], s[10:11], v[100:101]
	v_fma_f64 v[98:99], v[124:125], s[16:17], v[98:99]
	v_add_f64_e64 v[124:125], v[32:33], -v[44:45]
	s_delay_alu instid0(VALU_DEP_3) | instskip(SKIP_4) | instid1(VALU_DEP_4)
	v_fma_f64 v[88:89], v[90:91], s[0:1], v[100:101]
	v_mul_f64_e32 v[90:91], s[16:17], v[96:97]
	v_mul_f64_e32 v[96:97], s[20:21], v[96:97]
	v_fma_f64 v[82:83], v[82:83], s[0:1], v[98:99]
	v_fma_f64 v[98:99], v[152:153], s[2:3], v[134:135]
	v_fma_f64 v[90:91], v[88:89], s[20:21], v[90:91]
	s_delay_alu instid0(VALU_DEP_4) | instskip(NEXT) | instid1(VALU_DEP_3)
	v_fma_f64 v[96:97], v[88:89], s[10:11], v[96:97]
	v_fma_f64 v[98:99], v[148:149], s[10:11], v[98:99]
	s_delay_alu instid0(VALU_DEP_3)
	v_add_f64_e32 v[108:109], v[80:81], v[90:91]
	v_add_f64_e64 v[88:89], v[80:81], -v[90:91]
	v_fma_f64 v[80:81], v[160:161], s[2:3], v[142:143]
	v_add_f64_e32 v[110:111], v[82:83], v[96:97]
	v_add_f64_e64 v[90:91], v[82:83], -v[96:97]
	v_fma_f64 v[82:83], v[158:159], s[14:15], v[140:141]
	v_fma_f64 v[98:99], v[166:167], s[0:1], v[98:99]
	;; [unrolled: 1-line block ×3, first 2 shown]
	s_delay_alu instid0(VALU_DEP_3) | instskip(NEXT) | instid1(VALU_DEP_2)
	v_fma_f64 v[82:83], v[154:155], s[16:17], v[82:83]
	v_fma_f64 v[80:81], v[170:171], s[0:1], v[80:81]
	s_delay_alu instid0(VALU_DEP_2) | instskip(NEXT) | instid1(VALU_DEP_2)
	v_fma_f64 v[82:83], v[168:169], s[0:1], v[82:83]
	v_mul_f64_e32 v[96:97], s[16:17], v[80:81]
	s_delay_alu instid0(VALU_DEP_1) | instskip(SKIP_1) | instid1(VALU_DEP_1)
	v_fma_f64 v[96:97], v[82:83], s[12:13], v[96:97]
	v_mul_f64_e32 v[82:83], s[10:11], v[82:83]
	v_fma_f64 v[82:83], v[80:81], s[12:13], v[82:83]
	v_fma_f64 v[80:81], v[150:151], s[14:15], v[132:133]
	s_delay_alu instid0(VALU_DEP_2) | instskip(NEXT) | instid1(VALU_DEP_2)
	v_add_f64_e32 v[102:103], v[98:99], v[82:83]
	v_fma_f64 v[80:81], v[146:147], s[16:17], v[80:81]
	v_add_f64_e64 v[82:83], v[98:99], -v[82:83]
	v_fma_f64 v[98:99], v[154:155], s[2:3], v[162:163]
	s_delay_alu instid0(VALU_DEP_3) | instskip(NEXT) | instid1(VALU_DEP_2)
	v_fma_f64 v[80:81], v[144:145], s[0:1], v[80:81]
	v_fma_f64 v[98:99], v[158:159], s[16:17], v[98:99]
	s_delay_alu instid0(VALU_DEP_2) | instskip(SKIP_2) | instid1(VALU_DEP_4)
	v_add_f64_e32 v[100:101], v[80:81], v[96:97]
	v_add_f64_e64 v[80:81], v[80:81], -v[96:97]
	v_fma_f64 v[96:97], v[156:157], s[14:15], v[164:165]
	v_fma_f64 v[98:99], v[116:117], s[0:1], v[98:99]
	s_delay_alu instid0(VALU_DEP_2) | instskip(NEXT) | instid1(VALU_DEP_1)
	v_fma_f64 v[96:97], v[160:161], s[10:11], v[96:97]
	v_fma_f64 v[96:97], v[118:119], s[0:1], v[96:97]
	s_delay_alu instid0(VALU_DEP_1) | instskip(SKIP_1) | instid1(VALU_DEP_2)
	v_mul_f64_e32 v[112:113], s[14:15], v[96:97]
	v_mul_f64_e32 v[96:97], s[0:1], v[96:97]
	v_fma_f64 v[120:121], v[98:99], s[0:1], v[112:113]
	s_delay_alu instid0(VALU_DEP_2) | instskip(SKIP_2) | instid1(VALU_DEP_2)
	v_fma_f64 v[98:99], v[98:99], s[2:3], v[96:97]
	v_fma_f64 v[96:97], v[146:147], s[2:3], v[178:179]
	;; [unrolled: 1-line block ×4, first 2 shown]
	s_delay_alu instid0(VALU_DEP_2) | instskip(NEXT) | instid1(VALU_DEP_2)
	v_fma_f64 v[112:113], v[152:153], s[10:11], v[112:113]
	v_fma_f64 v[96:97], v[104:105], s[0:1], v[96:97]
	s_delay_alu instid0(VALU_DEP_2) | instskip(NEXT) | instid1(VALU_DEP_2)
	v_fma_f64 v[122:123], v[106:107], s[0:1], v[112:113]
	v_add_f64_e32 v[112:113], v[96:97], v[120:121]
	v_add_f64_e64 v[96:97], v[96:97], -v[120:121]
	v_fma_f64 v[120:121], v[146:147], s[14:15], v[178:179]
	s_delay_alu instid0(VALU_DEP_4) | instskip(SKIP_2) | instid1(VALU_DEP_4)
	v_add_f64_e32 v[114:115], v[122:123], v[98:99]
	v_add_f64_e64 v[98:99], v[122:123], -v[98:99]
	v_add_f64_e32 v[178:179], v[28:29], v[20:21]
	v_fma_f64 v[120:121], v[150:151], s[10:11], v[120:121]
	s_delay_alu instid0(VALU_DEP_1) | instskip(SKIP_1) | instid1(VALU_DEP_1)
	v_fma_f64 v[104:105], v[104:105], s[0:1], v[120:121]
	v_fma_f64 v[120:121], v[148:149], s[2:3], v[218:219]
	v_fma_f64 v[120:121], v[152:153], s[16:17], v[120:121]
	s_delay_alu instid0(VALU_DEP_1) | instskip(SKIP_2) | instid1(VALU_DEP_2)
	v_fma_f64 v[106:107], v[106:107], s[0:1], v[120:121]
	v_fma_f64 v[120:121], v[156:157], s[2:3], v[164:165]
	v_add_f64_e32 v[164:165], v[46:47], v[38:39]
	v_fma_f64 v[120:121], v[160:161], s[16:17], v[120:121]
	s_delay_alu instid0(VALU_DEP_1) | instskip(SKIP_2) | instid1(VALU_DEP_2)
	v_fma_f64 v[118:119], v[118:119], s[0:1], v[120:121]
	v_fma_f64 v[120:121], v[154:155], s[14:15], v[162:163]
	v_add_f64_e32 v[162:163], v[44:45], v[36:37]
	v_fma_f64 v[120:121], v[158:159], s[10:11], v[120:121]
	s_delay_alu instid0(VALU_DEP_1) | instskip(SKIP_2) | instid1(VALU_DEP_2)
	v_fma_f64 v[116:117], v[116:117], s[0:1], v[120:121]
	v_mul_f64_e32 v[120:121], s[14:15], v[118:119]
	v_mul_f64_e32 v[118:119], s[18:19], v[118:119]
	v_fma_f64 v[120:121], v[116:117], s[18:19], v[120:121]
	s_delay_alu instid0(VALU_DEP_2) | instskip(NEXT) | instid1(VALU_DEP_2)
	v_fma_f64 v[122:123], v[116:117], s[2:3], v[118:119]
	v_add_f64_e32 v[116:117], v[104:105], v[120:121]
	v_add_f64_e64 v[104:105], v[104:105], -v[120:121]
	v_add_f64_e32 v[120:121], v[248:249], v[32:33]
	s_delay_alu instid0(VALU_DEP_4)
	v_add_f64_e32 v[118:119], v[106:107], v[122:123]
	v_add_f64_e64 v[106:107], v[106:107], -v[122:123]
	v_add_f64_e64 v[122:123], v[44:45], -v[32:33]
	;; [unrolled: 1-line block ×3, first 2 shown]
	v_add_f64_e32 v[130:131], v[120:121], v[44:45]
	v_add_f64_e32 v[120:121], v[250:251], v[34:35]
	v_add_f64_e64 v[44:45], v[44:45], -v[36:37]
	s_delay_alu instid0(VALU_DEP_3) | instskip(NEXT) | instid1(VALU_DEP_3)
	v_add_f64_e32 v[138:139], v[130:131], v[36:37]
	v_add_f64_e32 v[136:137], v[120:121], v[46:47]
	v_add_f64_e64 v[120:121], v[46:47], -v[38:39]
	v_add_f64_e64 v[46:47], v[34:35], -v[42:43]
	;; [unrolled: 1-line block ×5, first 2 shown]
	v_add_f64_e32 v[138:139], v[138:139], v[40:41]
	v_add_f64_e32 v[176:177], v[136:137], v[38:39]
	v_add_f64_e64 v[136:137], v[42:43], -v[38:39]
	v_add_f64_e32 v[38:39], v[244:245], v[252:253]
	v_add_f64_e32 v[126:127], v[126:127], v[36:37]
	s_delay_alu instid0(VALU_DEP_4) | instskip(NEXT) | instid1(VALU_DEP_3)
	v_add_f64_e32 v[40:41], v[176:177], v[42:43]
	v_add_f64_e32 v[42:43], v[38:39], v[28:29]
	;; [unrolled: 1-line block ×4, first 2 shown]
	s_delay_alu instid0(VALU_DEP_3) | instskip(NEXT) | instid1(VALU_DEP_3)
	v_add_f64_e32 v[42:43], v[42:43], v[20:21]
	v_add_f64_e32 v[176:177], v[38:39], v[30:31]
	v_fma_f64 v[20:21], v[160:161], s[14:15], v[142:143]
	v_add_f64_e64 v[38:39], v[30:31], -v[22:23]
	v_add_f64_e32 v[30:31], v[254:255], v[26:27]
	v_add_f64_e32 v[160:161], v[180:181], v[196:197]
	v_fma_f64 v[142:143], v[174:175], -0.5, v[250:251]
	v_add_f64_e32 v[42:43], v[42:43], v[24:25]
	v_add_f64_e32 v[176:177], v[176:177], v[22:23]
	v_fma_f64 v[24:25], v[152:153], s[14:15], v[134:135]
	v_fma_f64 v[20:21], v[156:157], s[16:17], v[20:21]
	;; [unrolled: 1-line block ×3, first 2 shown]
	v_fma_f64 v[150:151], v[178:179], -0.5, v[244:245]
	v_fma_f64 v[152:153], v[28:29], -0.5, v[244:245]
	v_add_f64_e32 v[156:157], v[124:125], v[130:131]
	v_add_f64_e32 v[28:29], v[138:139], v[42:43]
	;; [unrolled: 1-line block ×3, first 2 shown]
	v_fma_f64 v[26:27], v[158:159], s[2:3], v[140:141]
	v_fma_f64 v[24:25], v[148:149], s[16:17], v[24:25]
	;; [unrolled: 1-line block ×4, first 2 shown]
	v_fma_f64 v[148:149], v[184:185], -0.5, v[246:247]
	v_fma_f64 v[146:147], v[164:165], -0.5, v[250:251]
	v_add_f64_e32 v[158:159], v[128:129], v[136:137]
	v_add_f64_e32 v[164:165], v[190:191], v[202:203]
	v_fma_f64 v[36:37], v[38:39], s[2:3], v[152:153]
	v_fma_f64 v[26:27], v[154:155], s[10:11], v[26:27]
	;; [unrolled: 1-line block ×3, first 2 shown]
	v_fma_f64 v[154:155], v[30:31], -0.5, v[246:247]
	v_fma_f64 v[22:23], v[144:145], s[0:1], v[22:23]
	v_add_f64_e32 v[30:31], v[40:41], v[176:177]
	v_fma_f64 v[144:145], v[162:163], -0.5, v[248:249]
	v_add_f64_e32 v[162:163], v[188:189], v[200:201]
	v_fma_f64 v[36:37], v[192:193], s[16:17], v[36:37]
	v_fma_f64 v[24:25], v[168:169], s[0:1], v[26:27]
	v_mul_f64_e32 v[26:27], s[16:17], v[20:21]
	v_mul_f64_e32 v[20:21], s[20:21], v[20:21]
	s_delay_alu instid0(VALU_DEP_2) | instskip(NEXT) | instid1(VALU_DEP_2)
	v_fma_f64 v[134:135], v[24:25], s[20:21], v[26:27]
	v_fma_f64 v[140:141], v[24:25], s[10:11], v[20:21]
	s_delay_alu instid0(VALU_DEP_2)
	v_add_f64_e32 v[24:25], v[22:23], v[134:135]
	v_add_f64_e64 v[20:21], v[22:23], -v[134:135]
	v_add_f64_e64 v[134:135], v[40:41], -v[176:177]
	v_fma_f64 v[40:41], v[194:195], s[2:3], v[148:149]
	v_add_f64_e32 v[26:27], v[132:133], v[140:141]
	v_add_f64_e64 v[22:23], v[132:133], -v[140:141]
	v_add_f64_e64 v[132:133], v[138:139], -v[42:43]
	v_fma_f64 v[42:43], v[192:193], s[14:15], v[150:151]
	v_add_f64_e32 v[138:139], v[182:183], v[198:199]
	v_fma_f64 v[140:141], v[172:173], -0.5, v[248:249]
	v_fma_f64 v[40:41], v[186:187], s[10:11], v[40:41]
	s_delay_alu instid0(VALU_DEP_4) | instskip(NEXT) | instid1(VALU_DEP_4)
	v_fma_f64 v[42:43], v[38:39], s[16:17], v[42:43]
	v_fma_f64 v[36:37], v[138:139], s[0:1], v[36:37]
	s_delay_alu instid0(VALU_DEP_3) | instskip(NEXT) | instid1(VALU_DEP_3)
	v_fma_f64 v[40:41], v[162:163], s[0:1], v[40:41]
	v_fma_f64 v[42:43], v[160:161], s[0:1], v[42:43]
	s_delay_alu instid0(VALU_DEP_2) | instskip(NEXT) | instid1(VALU_DEP_1)
	v_mul_f64_e32 v[124:125], s[16:17], v[40:41]
	v_fma_f64 v[124:125], v[42:43], s[12:13], v[124:125]
	v_mul_f64_e32 v[42:43], s[10:11], v[42:43]
	s_delay_alu instid0(VALU_DEP_1) | instskip(SKIP_2) | instid1(VALU_DEP_2)
	v_fma_f64 v[130:131], v[40:41], s[12:13], v[42:43]
	v_fma_f64 v[42:43], v[32:33], s[2:3], v[146:147]
	;; [unrolled: 1-line block ×4, first 2 shown]
	s_delay_alu instid0(VALU_DEP_2) | instskip(NEXT) | instid1(VALU_DEP_2)
	v_fma_f64 v[40:41], v[120:121], s[16:17], v[40:41]
	v_fma_f64 v[136:137], v[158:159], s[0:1], v[42:43]
	s_delay_alu instid0(VALU_DEP_2) | instskip(NEXT) | instid1(VALU_DEP_2)
	v_fma_f64 v[128:129], v[156:157], s[0:1], v[40:41]
	v_add_f64_e32 v[42:43], v[136:137], v[130:131]
	v_add_f64_e64 v[130:131], v[136:137], -v[130:131]
	v_add_f64_e32 v[136:137], v[122:123], v[34:35]
	v_fma_f64 v[34:35], v[186:187], s[14:15], v[154:155]
	v_add_f64_e32 v[40:41], v[128:129], v[124:125]
	v_add_f64_e64 v[128:129], v[128:129], -v[124:125]
	s_delay_alu instid0(VALU_DEP_3) | instskip(NEXT) | instid1(VALU_DEP_1)
	v_fma_f64 v[34:35], v[194:195], s[10:11], v[34:35]
	v_fma_f64 v[34:35], v[164:165], s[0:1], v[34:35]
	s_delay_alu instid0(VALU_DEP_1) | instskip(SKIP_1) | instid1(VALU_DEP_2)
	v_mul_f64_e32 v[122:123], s[14:15], v[34:35]
	v_mul_f64_e32 v[34:35], s[0:1], v[34:35]
	v_fma_f64 v[122:123], v[36:37], s[0:1], v[122:123]
	s_delay_alu instid0(VALU_DEP_2) | instskip(SKIP_3) | instid1(VALU_DEP_3)
	v_fma_f64 v[124:125], v[36:37], s[2:3], v[34:35]
	v_fma_f64 v[34:35], v[120:121], s[2:3], v[140:141]
	;; [unrolled: 1-line block ×5, first 2 shown]
	s_delay_alu instid0(VALU_DEP_3) | instskip(NEXT) | instid1(VALU_DEP_3)
	v_fma_f64 v[140:141], v[46:47], s[10:11], v[140:141]
	v_fma_f64 v[36:37], v[32:33], s[10:11], v[36:37]
	;; [unrolled: 1-line block ×11, first 2 shown]
	v_add_f64_e32 v[34:35], v[166:167], v[122:123]
	v_add_f64_e64 v[122:123], v[166:167], -v[122:123]
	v_fma_f64 v[136:137], v[32:33], s[16:17], v[136:137]
	v_fma_f64 v[32:33], v[32:33], s[14:15], v[146:147]
	;; [unrolled: 1-line block ×5, first 2 shown]
	v_add_f64_e32 v[36:37], v[168:169], v[124:125]
	v_add_f64_e64 v[124:125], v[168:169], -v[124:125]
	v_fma_f64 v[126:127], v[126:127], s[0:1], v[136:137]
	v_fma_f64 v[136:137], v[186:187], s[2:3], v[154:155]
	;; [unrolled: 1-line block ×4, first 2 shown]
	s_delay_alu instid0(VALU_DEP_3) | instskip(NEXT) | instid1(VALU_DEP_2)
	v_fma_f64 v[136:137], v[194:195], s[16:17], v[136:137]
	v_fma_f64 v[32:33], v[158:159], s[0:1], v[32:33]
	s_delay_alu instid0(VALU_DEP_2) | instskip(NEXT) | instid1(VALU_DEP_1)
	v_fma_f64 v[136:137], v[164:165], s[0:1], v[136:137]
	v_mul_f64_e32 v[142:143], s[14:15], v[136:137]
	v_mul_f64_e32 v[136:137], s[18:19], v[136:137]
	s_delay_alu instid0(VALU_DEP_2) | instskip(NEXT) | instid1(VALU_DEP_2)
	v_fma_f64 v[142:143], v[138:139], s[18:19], v[142:143]
	v_fma_f64 v[152:153], v[138:139], s[2:3], v[136:137]
	s_delay_alu instid0(VALU_DEP_2) | instskip(NEXT) | instid1(VALU_DEP_2)
	v_add_f64_e32 v[136:137], v[140:141], v[142:143]
	v_add_f64_e32 v[138:139], v[126:127], v[152:153]
	v_add_f64_e64 v[140:141], v[140:141], -v[142:143]
	v_add_f64_e64 v[142:143], v[126:127], -v[152:153]
	v_fma_f64 v[126:127], v[194:195], s[14:15], v[148:149]
	s_delay_alu instid0(VALU_DEP_1) | instskip(NEXT) | instid1(VALU_DEP_1)
	v_fma_f64 v[126:127], v[186:187], s[16:17], v[126:127]
	v_fma_f64 v[44:45], v[162:163], s[0:1], v[126:127]
	s_delay_alu instid0(VALU_DEP_1) | instskip(SKIP_1) | instid1(VALU_DEP_2)
	v_mul_f64_e32 v[46:47], s[16:17], v[44:45]
	v_mul_f64_e32 v[44:45], s[20:21], v[44:45]
	v_fma_f64 v[126:127], v[38:39], s[20:21], v[46:47]
	s_delay_alu instid0(VALU_DEP_2) | instskip(NEXT) | instid1(VALU_DEP_2)
	v_fma_f64 v[38:39], v[38:39], s[10:11], v[44:45]
	v_add_f64_e32 v[44:45], v[120:121], v[126:127]
	s_delay_alu instid0(VALU_DEP_2)
	v_add_f64_e32 v[46:47], v[32:33], v[38:39]
	v_add_f64_e64 v[146:147], v[32:33], -v[38:39]
	scratch_load_b32 v32, off, off offset:572 th:TH_LOAD_LU ; 4-byte Folded Reload
	v_add_f64_e64 v[144:145], v[120:121], -v[126:127]
	s_wait_loadcnt 0x0
	ds_store_b128 v32, v[60:63]
	ds_store_b128 v32, v[72:75] offset:16
	ds_store_b128 v32, v[84:87] offset:32
	;; [unrolled: 1-line block ×9, first 2 shown]
	scratch_load_b32 v32, off, off offset:576 th:TH_LOAD_LU ; 4-byte Folded Reload
	s_wait_loadcnt 0x0
	ds_store_b128 v32, v[48:51]
	ds_store_b128 v32, v[100:103] offset:16
	ds_store_b128 v32, v[112:115] offset:32
	;; [unrolled: 1-line block ×9, first 2 shown]
	ds_store_b128 v217, v[28:31]
	ds_store_b128 v217, v[40:43] offset:16
	ds_store_b128 v217, v[34:37] offset:32
	;; [unrolled: 1-line block ×9, first 2 shown]
	s_and_saveexec_b32 s22, vcc_lo
	s_cbranch_execz .LBB0_13
; %bb.12:
	s_clause 0x3
	scratch_load_b128 v[102:105], off, off offset:44 th:TH_LOAD_LU
	scratch_load_b128 v[106:109], off, off offset:60 th:TH_LOAD_LU
	;; [unrolled: 1-line block ×4, first 2 shown]
	v_add_f64_e64 v[36:37], v[222:223], -v[242:243]
	v_add_f64_e64 v[42:43], v[242:243], -v[222:223]
	;; [unrolled: 1-line block ×4, first 2 shown]
	v_add_f64_e32 v[70:71], v[226:227], v[234:235]
	v_add_f64_e32 v[72:73], v[230:231], v[222:223]
	;; [unrolled: 1-line block ×4, first 2 shown]
	v_add_f64_e64 v[86:87], v[236:237], -v[232:233]
	v_add_f64_e64 v[82:83], v[232:233], -v[236:237]
	s_wait_loadcnt 0x3
	v_add_f64_e32 v[20:21], v[242:243], v[104:105]
	s_wait_loadcnt 0x2
	v_add_f64_e32 v[22:23], v[222:223], v[108:109]
	v_add_f64_e32 v[24:25], v[240:241], v[102:103]
	v_add_f64_e64 v[26:27], v[220:221], -v[106:107]
	v_add_f64_e32 v[28:29], v[220:221], v[106:107]
	v_add_f64_e64 v[30:31], v[240:241], -v[102:103]
	v_add_f64_e64 v[32:33], v[222:223], -v[108:109]
	;; [unrolled: 1-line block ×3, first 2 shown]
	s_wait_loadcnt 0x0
	v_add_f64_e32 v[40:41], v[234:235], v[100:101]
	v_add_f64_e64 v[44:45], v[104:105], -v[108:109]
	v_add_f64_e32 v[46:47], v[236:237], v[94:95]
	v_add_f64_e64 v[48:49], v[242:243], -v[104:105]
	v_add_f64_e32 v[54:55], v[232:233], v[98:99]
	v_add_f64_e64 v[58:59], v[106:107], -v[102:103]
	v_add_f64_e64 v[68:69], v[102:103], -v[106:107]
	v_add_f64_e64 v[64:65], v[236:237], -v[94:95]
	;; [unrolled: 1-line block ×3, first 2 shown]
	v_add_f64_e32 v[34:35], v[238:239], v[96:97]
	v_add_f64_e64 v[62:63], v[232:233], -v[98:99]
	v_add_f64_e64 v[74:75], v[234:235], -v[100:101]
	;; [unrolled: 1-line block ×4, first 2 shown]
	v_fma_f64 v[20:21], v[20:21], -0.5, v[230:231]
	v_fma_f64 v[22:23], v[22:23], -0.5, v[230:231]
	;; [unrolled: 1-line block ×4, first 2 shown]
	v_add_f64_e32 v[36:37], v[36:37], v[38:39]
	v_fma_f64 v[40:41], v[40:41], -0.5, v[226:227]
	v_add_f64_e32 v[38:39], v[42:43], v[44:45]
	v_fma_f64 v[42:43], v[46:47], -0.5, v[224:225]
	v_add_f64_e32 v[66:67], v[66:67], v[68:69]
	v_add_f64_e32 v[68:69], v[70:71], v[238:239]
	;; [unrolled: 1-line block ×5, first 2 shown]
	v_fma_f64 v[34:35], v[34:35], -0.5, v[226:227]
	v_fma_f64 v[50:51], v[26:27], s[14:15], v[20:21]
	v_fma_f64 v[52:53], v[30:31], s[2:3], v[22:23]
	v_fma_f64 v[22:23], v[30:31], s[14:15], v[22:23]
	v_fma_f64 v[60:61], v[32:33], s[14:15], v[24:25]
	v_fma_f64 v[20:21], v[26:27], s[2:3], v[20:21]
	v_fma_f64 v[24:25], v[32:33], s[2:3], v[24:25]
	v_fma_f64 v[44:45], v[48:49], s[14:15], v[28:29]
	v_fma_f64 v[28:29], v[48:49], s[2:3], v[28:29]
	v_fma_f64 v[90:91], v[64:65], s[2:3], v[40:41]
	v_fma_f64 v[40:41], v[64:65], s[14:15], v[40:41]
	v_fma_f64 v[92:93], v[74:75], s[2:3], v[42:43]
	v_fma_f64 v[42:43], v[74:75], s[14:15], v[42:43]
	v_fma_f64 v[80:81], v[62:63], s[14:15], v[34:35]
	v_fma_f64 v[34:35], v[62:63], s[2:3], v[34:35]
	v_fma_f64 v[46:47], v[30:31], s[16:17], v[50:51]
	v_fma_f64 v[50:51], v[26:27], s[16:17], v[52:53]
	v_fma_f64 v[22:23], v[26:27], s[10:11], v[22:23]
	v_fma_f64 v[26:27], v[54:55], -0.5, v[224:225]
	v_add_f64_e32 v[52:53], v[56:57], v[58:59]
	v_fma_f64 v[54:55], v[48:49], s[16:17], v[60:61]
	v_fma_f64 v[20:21], v[30:31], s[10:11], v[20:21]
	v_add_f64_e64 v[30:31], v[234:235], -v[238:239]
	v_add_f64_e64 v[56:57], v[100:101], -v[96:97]
	;; [unrolled: 1-line block ×4, first 2 shown]
	v_fma_f64 v[24:25], v[48:49], s[10:11], v[24:25]
	v_fma_f64 v[44:45], v[32:33], s[10:11], v[44:45]
	;; [unrolled: 1-line block ×13, first 2 shown]
	v_add_f64_e32 v[54:55], v[86:87], v[88:89]
	v_add_f64_e32 v[30:31], v[30:31], v[56:57]
	;; [unrolled: 1-line block ×6, first 2 shown]
	v_fma_f64 v[72:73], v[62:63], s[16:17], v[90:91]
	v_fma_f64 v[24:25], v[52:53], s[0:1], v[24:25]
	;; [unrolled: 1-line block ×3, first 2 shown]
	v_add_f64_e32 v[58:59], v[70:71], v[104:105]
	v_add_f64_e32 v[50:51], v[82:83], v[84:85]
	v_fma_f64 v[70:71], v[64:65], s[16:17], v[80:81]
	v_fma_f64 v[44:45], v[66:67], s[0:1], v[44:45]
	;; [unrolled: 1-line block ×3, first 2 shown]
	v_mul_f64_e32 v[52:53], s[20:21], v[32:33]
	v_mul_f64_e32 v[32:33], s[16:17], v[32:33]
	;; [unrolled: 1-line block ×3, first 2 shown]
	v_fma_f64 v[38:39], v[74:75], s[10:11], v[38:39]
	v_fma_f64 v[26:27], v[74:75], s[16:17], v[26:27]
	v_mul_f64_e32 v[74:75], s[10:11], v[48:49]
	v_mul_f64_e32 v[76:77], s[16:17], v[20:21]
	;; [unrolled: 1-line block ×5, first 2 shown]
	v_add_f64_e32 v[56:57], v[56:57], v[100:101]
	v_add_f64_e32 v[60:61], v[60:61], v[98:99]
	;; [unrolled: 1-line block ×3, first 2 shown]
	v_fma_f64 v[72:73], v[36:37], s[0:1], v[72:73]
	v_fma_f64 v[36:37], v[36:37], s[0:1], v[40:41]
	;; [unrolled: 1-line block ×3, first 2 shown]
	v_add_f64_e32 v[58:59], v[58:59], v[108:109]
	v_fma_f64 v[82:83], v[50:51], s[0:1], v[42:43]
	v_fma_f64 v[70:71], v[30:31], s[0:1], v[70:71]
	;; [unrolled: 1-line block ×13, first 2 shown]
	v_add_f64_e64 v[20:21], v[60:61], -v[68:69]
	v_add_f64_e32 v[24:25], v[60:61], v[68:69]
	scratch_load_b32 v60, off, off offset:1940 th:TH_LOAD_LU ; 4-byte Folded Reload
	v_add_f64_e32 v[26:27], v[56:57], v[58:59]
	v_add_f64_e64 v[22:23], v[56:57], -v[58:59]
	v_add_f64_e64 v[30:31], v[70:71], -v[40:41]
	v_add_f64_e32 v[42:43], v[70:71], v[40:41]
	v_add_f64_e64 v[34:35], v[72:73], -v[52:53]
	v_add_f64_e32 v[46:47], v[72:73], v[52:53]
	v_add_f64_e32 v[40:41], v[62:63], v[86:87]
	;; [unrolled: 1-line block ×6, first 2 shown]
	v_add_f64_e64 v[58:59], v[78:79], -v[74:75]
	v_add_f64_e32 v[44:45], v[66:67], v[84:85]
	v_add_f64_e64 v[56:57], v[82:83], -v[76:77]
	v_add_f64_e64 v[38:39], v[36:37], -v[64:65]
	;; [unrolled: 1-line block ×5, first 2 shown]
	s_wait_loadcnt 0x0
	v_lshlrev_b32_e32 v60, 4, v60
	ds_store_b128 v60, v[24:27]
	ds_store_b128 v60, v[20:23] offset:80
	ds_store_b128 v60, v[52:55] offset:16
	ds_store_b128 v60, v[48:51] offset:32
	ds_store_b128 v60, v[44:47] offset:48
	ds_store_b128 v60, v[40:43] offset:64
	ds_store_b128 v60, v[56:59] offset:96
	ds_store_b128 v60, v[36:39] offset:112
	ds_store_b128 v60, v[32:35] offset:128
	ds_store_b128 v60, v[28:31] offset:144
.LBB0_13:
	s_wait_alu 0xfffe
	s_or_b32 exec_lo, exec_lo, s22
	global_wb scope:SCOPE_SE
	s_wait_dscnt 0x0
	s_barrier_signal -1
	s_barrier_wait -1
	global_inv scope:SCOPE_SE
	s_clause 0x2
	scratch_load_b128 v[26:29], off, off offset:692 th:TH_LOAD_LU
	scratch_load_b128 v[30:33], off, off offset:676 th:TH_LOAD_LU
	;; [unrolled: 1-line block ×3, first 2 shown]
	ds_load_b128 v[20:23], v216 offset:5760
	s_mov_b32 s2, 0xe8584caa
	s_mov_b32 s3, 0xbfebb67a
	s_mov_b32 s1, 0x3febb67a
	s_wait_alu 0xfffe
	s_mov_b32 s0, s2
	s_mul_i32 s10, s5, 0x1b00
	s_clause 0x2
	scratch_load_b128 v[132:135], off, off offset:1044 th:TH_LOAD_LU
	scratch_load_b128 v[44:47], off, off offset:1012 th:TH_LOAD_LU
	;; [unrolled: 1-line block ×3, first 2 shown]
	s_wait_loadcnt_dscnt 0x500
	v_mul_f64_e32 v[24:25], v[28:29], v[22:23]
	s_delay_alu instid0(VALU_DEP_1) | instskip(SKIP_1) | instid1(VALU_DEP_1)
	v_fma_f64 v[24:25], v[26:27], v[20:21], v[24:25]
	v_mul_f64_e32 v[20:21], v[28:29], v[20:21]
	v_fma_f64 v[26:27], v[26:27], v[22:23], -v[20:21]
	ds_load_b128 v[20:23], v216 offset:11520
	s_wait_loadcnt_dscnt 0x400
	v_mul_f64_e32 v[28:29], v[32:33], v[22:23]
	s_delay_alu instid0(VALU_DEP_1) | instskip(SKIP_1) | instid1(VALU_DEP_1)
	v_fma_f64 v[28:29], v[30:31], v[20:21], v[28:29]
	v_mul_f64_e32 v[20:21], v[32:33], v[20:21]
	v_fma_f64 v[30:31], v[30:31], v[22:23], -v[20:21]
	ds_load_b128 v[20:23], v216 offset:17280
	s_wait_loadcnt_dscnt 0x300
	v_mul_f64_e32 v[32:33], v[36:37], v[22:23]
	s_delay_alu instid0(VALU_DEP_1) | instskip(SKIP_1) | instid1(VALU_DEP_1)
	v_fma_f64 v[140:141], v[34:35], v[20:21], v[32:33]
	v_mul_f64_e32 v[20:21], v[36:37], v[20:21]
	v_fma_f64 v[142:143], v[34:35], v[22:23], -v[20:21]
	scratch_load_b128 v[34:37], off, off offset:644 th:TH_LOAD_LU ; 16-byte Folded Reload
	ds_load_b128 v[20:23], v216 offset:23040
	s_wait_loadcnt_dscnt 0x0
	v_mul_f64_e32 v[32:33], v[36:37], v[22:23]
	s_delay_alu instid0(VALU_DEP_1) | instskip(SKIP_1) | instid1(VALU_DEP_1)
	v_fma_f64 v[144:145], v[34:35], v[20:21], v[32:33]
	v_mul_f64_e32 v[20:21], v[36:37], v[20:21]
	v_fma_f64 v[146:147], v[34:35], v[22:23], -v[20:21]
	scratch_load_b128 v[34:37], off, off offset:628 th:TH_LOAD_LU ; 16-byte Folded Reload
	;; [unrolled: 8-line block ×23, first 2 shown]
	ds_load_b128 v[20:23], v216 offset:10560
	s_wait_loadcnt_dscnt 0x0
	v_mul_f64_e32 v[32:33], v[36:37], v[22:23]
	s_delay_alu instid0(VALU_DEP_1) | instskip(SKIP_1) | instid1(VALU_DEP_1)
	v_fma_f64 v[32:33], v[34:35], v[20:21], v[32:33]
	v_mul_f64_e32 v[20:21], v[36:37], v[20:21]
	v_fma_f64 v[36:37], v[34:35], v[22:23], -v[20:21]
	ds_load_b128 v[20:23], v216 offset:16320
	s_wait_dscnt 0x0
	v_mul_f64_e32 v[34:35], v[40:41], v[22:23]
	s_delay_alu instid0(VALU_DEP_1) | instskip(SKIP_1) | instid1(VALU_DEP_1)
	v_fma_f64 v[34:35], v[38:39], v[20:21], v[34:35]
	v_mul_f64_e32 v[20:21], v[40:41], v[20:21]
	v_fma_f64 v[38:39], v[38:39], v[22:23], -v[20:21]
	ds_load_b128 v[20:23], v216 offset:22080
	s_wait_dscnt 0x0
	v_mul_f64_e32 v[40:41], v[46:47], v[22:23]
	s_delay_alu instid0(VALU_DEP_1)
	v_fma_f64 v[42:43], v[44:45], v[20:21], v[40:41]
	v_mul_f64_e32 v[20:21], v[46:47], v[20:21]
	scratch_load_b128 v[46:49], off, off offset:1028 th:TH_LOAD_LU ; 16-byte Folded Reload
	v_fma_f64 v[40:41], v[44:45], v[22:23], -v[20:21]
	ds_load_b128 v[20:23], v216 offset:27840
	s_wait_loadcnt_dscnt 0x0
	v_mul_f64_e32 v[44:45], v[48:49], v[22:23]
	s_delay_alu instid0(VALU_DEP_1) | instskip(SKIP_1) | instid1(VALU_DEP_1)
	v_fma_f64 v[44:45], v[46:47], v[20:21], v[44:45]
	v_mul_f64_e32 v[20:21], v[48:49], v[20:21]
	v_fma_f64 v[46:47], v[46:47], v[22:23], -v[20:21]
	ds_load_b128 v[20:23], v216 offset:33600
	s_wait_dscnt 0x0
	v_mul_f64_e32 v[48:49], v[134:135], v[22:23]
	s_delay_alu instid0(VALU_DEP_1) | instskip(SKIP_1) | instid1(VALU_DEP_1)
	v_fma_f64 v[50:51], v[132:133], v[20:21], v[48:49]
	v_mul_f64_e32 v[20:21], v[134:135], v[20:21]
	v_fma_f64 v[48:49], v[132:133], v[22:23], -v[20:21]
	v_add_f64_e32 v[132:133], v[28:29], v[144:145]
	ds_load_b128 v[20:23], v216
	s_wait_dscnt 0x0
	v_fma_f64 v[152:153], v[132:133], -0.5, v[20:21]
	v_add_f64_e32 v[132:133], v[30:31], v[146:147]
	v_add_f64_e32 v[20:21], v[20:21], v[28:29]
	v_add_f64_e64 v[28:29], v[28:29], -v[144:145]
	s_delay_alu instid0(VALU_DEP_3) | instskip(SKIP_4) | instid1(VALU_DEP_4)
	v_fma_f64 v[154:155], v[132:133], -0.5, v[22:23]
	v_add_f64_e32 v[132:133], v[24:25], v[140:141]
	v_add_f64_e32 v[22:23], v[22:23], v[30:31]
	;; [unrolled: 1-line block ×3, first 2 shown]
	v_add_f64_e64 v[30:31], v[30:31], -v[146:147]
	v_add_f64_e32 v[136:137], v[132:133], v[148:149]
	v_add_f64_e32 v[132:133], v[26:27], v[142:143]
	;; [unrolled: 1-line block ×3, first 2 shown]
	s_delay_alu instid0(VALU_DEP_2) | instskip(NEXT) | instid1(VALU_DEP_4)
	v_add_f64_e32 v[138:139], v[132:133], v[150:151]
	v_add_f64_e32 v[132:133], v[20:21], v[136:137]
	v_add_f64_e64 v[136:137], v[20:21], -v[136:137]
	v_add_f64_e32 v[20:21], v[142:143], v[150:151]
	s_delay_alu instid0(VALU_DEP_4) | instskip(SKIP_2) | instid1(VALU_DEP_4)
	v_add_f64_e32 v[134:135], v[22:23], v[138:139]
	v_add_f64_e64 v[138:139], v[22:23], -v[138:139]
	v_add_f64_e32 v[22:23], v[140:141], v[148:149]
	v_fma_f64 v[20:21], v[20:21], -0.5, v[26:27]
	v_add_f64_e64 v[26:27], v[140:141], -v[148:149]
	s_delay_alu instid0(VALU_DEP_3) | instskip(SKIP_2) | instid1(VALU_DEP_3)
	v_fma_f64 v[22:23], v[22:23], -0.5, v[24:25]
	v_add_f64_e64 v[24:25], v[142:143], -v[150:151]
	s_wait_alu 0xfffe
	v_fma_f64 v[140:141], v[26:27], s[0:1], v[20:21]
	v_fma_f64 v[20:21], v[26:27], s[2:3], v[20:21]
	;; [unrolled: 1-line block ×6, first 2 shown]
	v_mul_f64_e32 v[142:143], s[2:3], v[140:141]
	v_mul_f64_e32 v[140:141], 0.5, v[140:141]
	v_fma_f64 v[22:23], v[24:25], s[0:1], v[22:23]
	v_mul_f64_e32 v[24:25], s[2:3], v[20:21]
	v_mul_f64_e32 v[20:21], -0.5, v[20:21]
	v_fma_f64 v[146:147], v[144:145], 0.5, v[142:143]
	v_fma_f64 v[148:149], v[144:145], s[0:1], v[140:141]
	v_fma_f64 v[144:145], v[30:31], s[2:3], v[152:153]
	v_fma_f64 v[24:25], v[22:23], -0.5, v[24:25]
	v_fma_f64 v[20:21], v[22:23], s[0:1], v[20:21]
	s_delay_alu instid0(VALU_DEP_4) | instskip(NEXT) | instid1(VALU_DEP_4)
	v_add_f64_e32 v[142:143], v[150:151], v[148:149]
	v_add_f64_e32 v[140:141], v[144:145], v[146:147]
	v_add_f64_e64 v[144:145], v[144:145], -v[146:147]
	v_add_f64_e64 v[146:147], v[150:151], -v[148:149]
	v_add_f64_e32 v[148:149], v[26:27], v[24:25]
	v_add_f64_e32 v[150:151], v[28:29], v[20:21]
	v_add_f64_e64 v[152:153], v[26:27], -v[24:25]
	v_add_f64_e64 v[154:155], v[28:29], -v[20:21]
	ds_load_b128 v[20:23], v216 offset:4800
	ds_load_b128 v[156:159], v216 offset:960
	;; [unrolled: 1-line block ×5, first 2 shown]
	global_wb scope:SCOPE_SE
	s_wait_dscnt 0x0
	s_barrier_signal -1
	s_barrier_wait -1
	global_inv scope:SCOPE_SE
	scratch_load_b32 v160, off, off offset:1060 th:TH_LOAD_LU ; 4-byte Folded Reload
	s_wait_loadcnt 0x0
	ds_store_b128 v160, v[132:135]
	ds_store_b128 v160, v[136:139] offset:480
	ds_store_b128 v160, v[140:143] offset:160
	;; [unrolled: 1-line block ×5, first 2 shown]
	v_add_f64_e32 v[132:133], v[116:117], v[124:125]
	v_add_f64_e32 v[134:135], v[158:159], v[118:119]
	s_delay_alu instid0(VALU_DEP_2) | instskip(SKIP_1) | instid1(VALU_DEP_3)
	v_fma_f64 v[140:141], v[132:133], -0.5, v[156:157]
	v_add_f64_e32 v[132:133], v[118:119], v[126:127]
	v_add_f64_e32 v[138:139], v[134:135], v[126:127]
	v_add_f64_e64 v[126:127], v[118:119], -v[126:127]
	s_delay_alu instid0(VALU_DEP_3) | instskip(SKIP_1) | instid1(VALU_DEP_1)
	v_fma_f64 v[142:143], v[132:133], -0.5, v[158:159]
	v_add_f64_e32 v[132:133], v[156:157], v[116:117]
	v_add_f64_e32 v[136:137], v[132:133], v[124:125]
	;; [unrolled: 1-line block ×3, first 2 shown]
	v_add_f64_e64 v[124:125], v[116:117], -v[124:125]
	s_delay_alu instid0(VALU_DEP_2) | instskip(SKIP_1) | instid1(VALU_DEP_1)
	v_add_f64_e32 v[144:145], v[132:133], v[130:131]
	v_add_f64_e32 v[132:133], v[114:115], v[120:121]
	;; [unrolled: 1-line block ×3, first 2 shown]
	s_delay_alu instid0(VALU_DEP_3)
	v_add_f64_e32 v[132:133], v[136:137], v[144:145]
	v_add_f64_e64 v[136:137], v[136:137], -v[144:145]
	v_add_f64_e32 v[144:145], v[122:123], v[130:131]
	v_add_f64_e64 v[122:123], v[122:123], -v[130:131]
	;; [unrolled: 2-line block ×4, first 2 shown]
	v_fma_f64 v[146:147], v[124:125], s[0:1], v[142:143]
	v_fma_f64 v[128:129], v[144:145], -0.5, v[112:113]
	v_fma_f64 v[130:131], v[130:131], -0.5, v[114:115]
	s_delay_alu instid0(VALU_DEP_2) | instskip(SKIP_1) | instid1(VALU_DEP_3)
	v_fma_f64 v[116:117], v[120:121], s[2:3], v[128:129]
	v_fma_f64 v[120:121], v[120:121], s[0:1], v[128:129]
	;; [unrolled: 1-line block ×5, first 2 shown]
	s_delay_alu instid0(VALU_DEP_3) | instskip(SKIP_1) | instid1(VALU_DEP_4)
	v_mul_f64_e32 v[114:115], s[2:3], v[112:113]
	v_mul_f64_e32 v[112:113], 0.5, v[112:113]
	v_mul_f64_e32 v[124:125], s[2:3], v[122:123]
	v_mul_f64_e32 v[122:123], -0.5, v[122:123]
	s_delay_alu instid0(VALU_DEP_4) | instskip(NEXT) | instid1(VALU_DEP_4)
	v_fma_f64 v[118:119], v[116:117], 0.5, v[114:115]
	v_fma_f64 v[144:145], v[116:117], s[0:1], v[112:113]
	v_fma_f64 v[116:117], v[126:127], s[2:3], v[140:141]
	;; [unrolled: 1-line block ×3, first 2 shown]
	v_fma_f64 v[124:125], v[120:121], -0.5, v[124:125]
	v_fma_f64 v[128:129], v[120:121], s[0:1], v[122:123]
	v_add_f64_e32 v[114:115], v[146:147], v[144:145]
	v_add_f64_e32 v[112:113], v[116:117], v[118:119]
	v_add_f64_e64 v[116:117], v[116:117], -v[118:119]
	v_add_f64_e32 v[120:121], v[126:127], v[124:125]
	v_add_f64_e32 v[122:123], v[130:131], v[128:129]
	v_add_f64_e64 v[124:125], v[126:127], -v[124:125]
	v_add_f64_e64 v[126:127], v[130:131], -v[128:129]
	scratch_load_b32 v128, off, off offset:1064 th:TH_LOAD_LU ; 4-byte Folded Reload
	v_add_f64_e64 v[118:119], v[146:147], -v[144:145]
	s_wait_loadcnt 0x0
	ds_store_b128 v128, v[132:135]
	ds_store_b128 v128, v[112:115] offset:160
	ds_store_b128 v128, v[120:123] offset:320
	;; [unrolled: 1-line block ×5, first 2 shown]
	v_add_f64_e32 v[112:113], v[96:97], v[104:105]
	v_add_f64_e32 v[114:115], v[168:169], v[98:99]
	s_delay_alu instid0(VALU_DEP_2) | instskip(SKIP_1) | instid1(VALU_DEP_3)
	v_fma_f64 v[120:121], v[112:113], -0.5, v[166:167]
	v_add_f64_e32 v[112:113], v[98:99], v[106:107]
	v_add_f64_e32 v[118:119], v[114:115], v[106:107]
	v_add_f64_e64 v[106:107], v[98:99], -v[106:107]
	s_delay_alu instid0(VALU_DEP_3) | instskip(SKIP_1) | instid1(VALU_DEP_1)
	v_fma_f64 v[122:123], v[112:113], -0.5, v[168:169]
	v_add_f64_e32 v[112:113], v[166:167], v[96:97]
	v_add_f64_e32 v[116:117], v[112:113], v[104:105]
	;; [unrolled: 1-line block ×3, first 2 shown]
	v_add_f64_e64 v[104:105], v[96:97], -v[104:105]
	s_delay_alu instid0(VALU_DEP_2) | instskip(SKIP_1) | instid1(VALU_DEP_1)
	v_add_f64_e32 v[124:125], v[112:113], v[110:111]
	v_add_f64_e32 v[112:113], v[94:95], v[100:101]
	;; [unrolled: 1-line block ×3, first 2 shown]
	s_delay_alu instid0(VALU_DEP_3)
	v_add_f64_e32 v[112:113], v[116:117], v[124:125]
	v_add_f64_e64 v[116:117], v[116:117], -v[124:125]
	v_add_f64_e32 v[124:125], v[102:103], v[110:111]
	v_add_f64_e64 v[102:103], v[102:103], -v[110:111]
	;; [unrolled: 2-line block ×4, first 2 shown]
	v_fma_f64 v[126:127], v[104:105], s[0:1], v[122:123]
	v_fma_f64 v[108:109], v[124:125], -0.5, v[92:93]
	v_fma_f64 v[110:111], v[110:111], -0.5, v[94:95]
	s_delay_alu instid0(VALU_DEP_2) | instskip(SKIP_1) | instid1(VALU_DEP_3)
	v_fma_f64 v[96:97], v[100:101], s[2:3], v[108:109]
	v_fma_f64 v[100:101], v[100:101], s[0:1], v[108:109]
	;; [unrolled: 1-line block ×5, first 2 shown]
	s_delay_alu instid0(VALU_DEP_3) | instskip(SKIP_1) | instid1(VALU_DEP_4)
	v_mul_f64_e32 v[94:95], s[2:3], v[92:93]
	v_mul_f64_e32 v[92:93], 0.5, v[92:93]
	v_mul_f64_e32 v[104:105], s[2:3], v[102:103]
	v_mul_f64_e32 v[102:103], -0.5, v[102:103]
	s_delay_alu instid0(VALU_DEP_4) | instskip(NEXT) | instid1(VALU_DEP_4)
	v_fma_f64 v[98:99], v[96:97], 0.5, v[94:95]
	v_fma_f64 v[124:125], v[96:97], s[0:1], v[92:93]
	v_fma_f64 v[96:97], v[106:107], s[2:3], v[120:121]
	;; [unrolled: 1-line block ×3, first 2 shown]
	v_fma_f64 v[104:105], v[100:101], -0.5, v[104:105]
	v_fma_f64 v[108:109], v[100:101], s[0:1], v[102:103]
	v_add_f64_e32 v[94:95], v[126:127], v[124:125]
	v_add_f64_e32 v[92:93], v[96:97], v[98:99]
	v_add_f64_e64 v[96:97], v[96:97], -v[98:99]
	v_add_f64_e32 v[100:101], v[106:107], v[104:105]
	v_add_f64_e32 v[102:103], v[110:111], v[108:109]
	v_add_f64_e64 v[104:105], v[106:107], -v[104:105]
	v_add_f64_e64 v[106:107], v[110:111], -v[108:109]
	scratch_load_b32 v108, off, off offset:1404 th:TH_LOAD_LU ; 4-byte Folded Reload
	v_add_f64_e64 v[98:99], v[126:127], -v[124:125]
	s_wait_loadcnt 0x0
	ds_store_b128 v108, v[112:115]
	ds_store_b128 v108, v[92:95] offset:160
	ds_store_b128 v108, v[100:103] offset:320
	;; [unrolled: 1-line block ×5, first 2 shown]
	v_add_f64_e32 v[92:93], v[76:77], v[84:85]
	s_delay_alu instid0(VALU_DEP_1) | instskip(SKIP_2) | instid1(VALU_DEP_2)
	v_fma_f64 v[96:97], v[92:93], -0.5, v[28:29]
	v_add_f64_e32 v[92:93], v[78:79], v[86:87]
	v_add_f64_e32 v[28:29], v[28:29], v[76:77]
	v_fma_f64 v[98:99], v[92:93], -0.5, v[30:31]
	s_delay_alu instid0(VALU_DEP_2) | instskip(SKIP_3) | instid1(VALU_DEP_3)
	v_add_f64_e32 v[92:93], v[28:29], v[84:85]
	v_add_f64_e32 v[28:29], v[72:73], v[82:83]
	;; [unrolled: 1-line block ×3, first 2 shown]
	v_add_f64_e64 v[84:85], v[76:77], -v[84:85]
	v_add_f64_e32 v[100:101], v[28:29], v[90:91]
	v_add_f64_e32 v[28:29], v[74:75], v[80:81]
	s_delay_alu instid0(VALU_DEP_4) | instskip(SKIP_1) | instid1(VALU_DEP_3)
	v_add_f64_e32 v[94:95], v[30:31], v[86:87]
	v_add_f64_e64 v[86:87], v[78:79], -v[86:87]
	v_add_f64_e32 v[102:103], v[28:29], v[88:89]
	v_add_f64_e32 v[28:29], v[92:93], v[100:101]
	v_add_f64_e64 v[92:93], v[92:93], -v[100:101]
	v_add_f64_e32 v[100:101], v[80:81], v[88:89]
	v_add_f64_e64 v[80:81], v[80:81], -v[88:89]
	;; [unrolled: 2-line block ×3, first 2 shown]
	v_fma_f64 v[102:103], v[84:85], s[0:1], v[98:99]
	v_fma_f64 v[100:101], v[100:101], -0.5, v[74:75]
	v_add_f64_e32 v[74:75], v[82:83], v[90:91]
	v_add_f64_e64 v[82:83], v[82:83], -v[90:91]
	s_delay_alu instid0(VALU_DEP_2) | instskip(NEXT) | instid1(VALU_DEP_2)
	v_fma_f64 v[90:91], v[74:75], -0.5, v[72:73]
	v_fma_f64 v[72:73], v[82:83], s[0:1], v[100:101]
	v_fma_f64 v[82:83], v[82:83], s[2:3], v[100:101]
	s_delay_alu instid0(VALU_DEP_3) | instskip(NEXT) | instid1(VALU_DEP_3)
	v_fma_f64 v[76:77], v[80:81], s[2:3], v[90:91]
	v_mul_f64_e32 v[74:75], s[2:3], v[72:73]
	v_mul_f64_e32 v[72:73], 0.5, v[72:73]
	v_fma_f64 v[80:81], v[80:81], s[0:1], v[90:91]
	s_delay_alu instid0(VALU_DEP_3) | instskip(NEXT) | instid1(VALU_DEP_3)
	v_fma_f64 v[78:79], v[76:77], 0.5, v[74:75]
	v_fma_f64 v[88:89], v[76:77], s[0:1], v[72:73]
	v_fma_f64 v[76:77], v[86:87], s[2:3], v[96:97]
	;; [unrolled: 1-line block ×3, first 2 shown]
	s_delay_alu instid0(VALU_DEP_3) | instskip(NEXT) | instid1(VALU_DEP_3)
	v_add_f64_e32 v[74:75], v[102:103], v[88:89]
	v_add_f64_e32 v[72:73], v[76:77], v[78:79]
	v_add_f64_e64 v[76:77], v[76:77], -v[78:79]
	v_add_f64_e64 v[78:79], v[102:103], -v[88:89]
	v_fma_f64 v[88:89], v[84:85], s[2:3], v[98:99]
	v_mul_f64_e32 v[84:85], s[2:3], v[82:83]
	v_mul_f64_e32 v[82:83], -0.5, v[82:83]
	s_delay_alu instid0(VALU_DEP_2) | instskip(NEXT) | instid1(VALU_DEP_2)
	v_fma_f64 v[84:85], v[80:81], -0.5, v[84:85]
	v_fma_f64 v[90:91], v[80:81], s[0:1], v[82:83]
	s_delay_alu instid0(VALU_DEP_2) | instskip(NEXT) | instid1(VALU_DEP_2)
	v_add_f64_e32 v[80:81], v[86:87], v[84:85]
	v_add_f64_e32 v[82:83], v[88:89], v[90:91]
	v_add_f64_e64 v[84:85], v[86:87], -v[84:85]
	v_add_f64_e64 v[86:87], v[88:89], -v[90:91]
	scratch_load_b32 v88, off, off offset:1396 th:TH_LOAD_LU ; 4-byte Folded Reload
	s_wait_loadcnt 0x0
	ds_store_b128 v88, v[28:31]
	ds_store_b128 v88, v[72:75] offset:160
	ds_store_b128 v88, v[80:83] offset:320
	;; [unrolled: 1-line block ×5, first 2 shown]
	v_add_f64_e32 v[28:29], v[54:55], v[64:65]
	s_delay_alu instid0(VALU_DEP_1) | instskip(SKIP_2) | instid1(VALU_DEP_2)
	v_fma_f64 v[72:73], v[28:29], -0.5, v[24:25]
	v_add_f64_e32 v[28:29], v[58:59], v[66:67]
	v_add_f64_e32 v[24:25], v[24:25], v[54:55]
	v_fma_f64 v[74:75], v[28:29], -0.5, v[26:27]
	s_delay_alu instid0(VALU_DEP_2) | instskip(SKIP_3) | instid1(VALU_DEP_3)
	v_add_f64_e32 v[28:29], v[24:25], v[64:65]
	v_add_f64_e32 v[24:25], v[52:53], v[62:63]
	;; [unrolled: 1-line block ×3, first 2 shown]
	v_add_f64_e64 v[64:65], v[54:55], -v[64:65]
	v_add_f64_e32 v[76:77], v[24:25], v[70:71]
	v_add_f64_e32 v[24:25], v[56:57], v[60:61]
	s_delay_alu instid0(VALU_DEP_4) | instskip(SKIP_1) | instid1(VALU_DEP_3)
	v_add_f64_e32 v[30:31], v[26:27], v[66:67]
	v_add_f64_e64 v[66:67], v[58:59], -v[66:67]
	v_add_f64_e32 v[78:79], v[24:25], v[68:69]
	v_add_f64_e32 v[24:25], v[28:29], v[76:77]
	v_add_f64_e64 v[28:29], v[28:29], -v[76:77]
	v_add_f64_e32 v[76:77], v[60:61], v[68:69]
	v_add_f64_e64 v[60:61], v[60:61], -v[68:69]
	;; [unrolled: 2-line block ×3, first 2 shown]
	v_fma_f64 v[78:79], v[64:65], s[0:1], v[74:75]
	v_fma_f64 v[76:77], v[76:77], -0.5, v[56:57]
	v_add_f64_e32 v[56:57], v[62:63], v[70:71]
	v_add_f64_e64 v[62:63], v[62:63], -v[70:71]
	s_delay_alu instid0(VALU_DEP_2) | instskip(NEXT) | instid1(VALU_DEP_2)
	v_fma_f64 v[70:71], v[56:57], -0.5, v[52:53]
	v_fma_f64 v[52:53], v[62:63], s[0:1], v[76:77]
	v_fma_f64 v[62:63], v[62:63], s[2:3], v[76:77]
	s_delay_alu instid0(VALU_DEP_3) | instskip(NEXT) | instid1(VALU_DEP_3)
	v_fma_f64 v[56:57], v[60:61], s[2:3], v[70:71]
	v_mul_f64_e32 v[54:55], s[2:3], v[52:53]
	v_mul_f64_e32 v[52:53], 0.5, v[52:53]
	v_fma_f64 v[60:61], v[60:61], s[0:1], v[70:71]
	s_delay_alu instid0(VALU_DEP_3) | instskip(NEXT) | instid1(VALU_DEP_3)
	v_fma_f64 v[58:59], v[56:57], 0.5, v[54:55]
	v_fma_f64 v[68:69], v[56:57], s[0:1], v[52:53]
	v_fma_f64 v[56:57], v[66:67], s[2:3], v[72:73]
	;; [unrolled: 1-line block ×3, first 2 shown]
	s_delay_alu instid0(VALU_DEP_3) | instskip(NEXT) | instid1(VALU_DEP_3)
	v_add_f64_e32 v[54:55], v[78:79], v[68:69]
	v_add_f64_e32 v[52:53], v[56:57], v[58:59]
	v_add_f64_e64 v[56:57], v[56:57], -v[58:59]
	v_add_f64_e64 v[58:59], v[78:79], -v[68:69]
	v_fma_f64 v[68:69], v[64:65], s[2:3], v[74:75]
	v_mul_f64_e32 v[64:65], s[2:3], v[62:63]
	v_mul_f64_e32 v[62:63], -0.5, v[62:63]
	s_delay_alu instid0(VALU_DEP_2) | instskip(NEXT) | instid1(VALU_DEP_2)
	v_fma_f64 v[64:65], v[60:61], -0.5, v[64:65]
	v_fma_f64 v[70:71], v[60:61], s[0:1], v[62:63]
	s_delay_alu instid0(VALU_DEP_2) | instskip(NEXT) | instid1(VALU_DEP_2)
	v_add_f64_e32 v[60:61], v[66:67], v[64:65]
	v_add_f64_e32 v[62:63], v[68:69], v[70:71]
	v_add_f64_e64 v[64:65], v[66:67], -v[64:65]
	v_add_f64_e64 v[66:67], v[68:69], -v[70:71]
	scratch_load_b32 v68, off, off offset:1392 th:TH_LOAD_LU ; 4-byte Folded Reload
	s_wait_loadcnt 0x0
	ds_store_b128 v68, v[24:27]
	ds_store_b128 v68, v[52:55] offset:160
	ds_store_b128 v68, v[60:63] offset:320
	;; [unrolled: 1-line block ×5, first 2 shown]
	v_add_f64_e32 v[24:25], v[34:35], v[44:45]
	s_delay_alu instid0(VALU_DEP_1) | instskip(SKIP_2) | instid1(VALU_DEP_2)
	v_fma_f64 v[52:53], v[24:25], -0.5, v[20:21]
	v_add_f64_e32 v[24:25], v[38:39], v[46:47]
	v_add_f64_e32 v[20:21], v[20:21], v[34:35]
	v_fma_f64 v[54:55], v[24:25], -0.5, v[22:23]
	s_delay_alu instid0(VALU_DEP_2) | instskip(SKIP_4) | instid1(VALU_DEP_4)
	v_add_f64_e32 v[24:25], v[20:21], v[44:45]
	v_add_f64_e32 v[20:21], v[32:33], v[42:43]
	;; [unrolled: 1-line block ×3, first 2 shown]
	v_add_f64_e64 v[38:39], v[38:39], -v[46:47]
	v_add_f64_e64 v[44:45], v[34:35], -v[44:45]
	v_add_f64_e32 v[28:29], v[20:21], v[50:51]
	v_add_f64_e32 v[20:21], v[36:37], v[40:41]
	;; [unrolled: 1-line block ×3, first 2 shown]
	s_delay_alu instid0(VALU_DEP_2) | instskip(NEXT) | instid1(VALU_DEP_4)
	v_add_f64_e32 v[30:31], v[20:21], v[48:49]
	v_add_f64_e32 v[20:21], v[24:25], v[28:29]
	v_add_f64_e64 v[24:25], v[24:25], -v[28:29]
	v_add_f64_e32 v[28:29], v[40:41], v[48:49]
	v_add_f64_e64 v[40:41], v[40:41], -v[48:49]
	v_add_f64_e32 v[22:23], v[26:27], v[30:31]
	v_add_f64_e64 v[26:27], v[26:27], -v[30:31]
	s_delay_alu instid0(VALU_DEP_4) | instskip(SKIP_4) | instid1(VALU_DEP_4)
	v_fma_f64 v[36:37], v[28:29], -0.5, v[36:37]
	v_add_f64_e32 v[28:29], v[42:43], v[50:51]
	v_add_f64_e64 v[42:43], v[42:43], -v[50:51]
	v_fma_f64 v[50:51], v[44:45], s[0:1], v[54:55]
	v_fma_f64 v[44:45], v[44:45], s[2:3], v[54:55]
	v_fma_f64 v[46:47], v[28:29], -0.5, v[32:33]
	s_delay_alu instid0(VALU_DEP_4) | instskip(SKIP_2) | instid1(VALU_DEP_4)
	v_fma_f64 v[28:29], v[42:43], s[0:1], v[36:37]
	v_fma_f64 v[36:37], v[42:43], s[2:3], v[36:37]
	;; [unrolled: 1-line block ×4, first 2 shown]
	s_delay_alu instid0(VALU_DEP_4) | instskip(SKIP_1) | instid1(VALU_DEP_2)
	v_mul_f64_e32 v[30:31], s[2:3], v[28:29]
	v_mul_f64_e32 v[28:29], 0.5, v[28:29]
	v_fma_f64 v[34:35], v[32:33], 0.5, v[30:31]
	s_delay_alu instid0(VALU_DEP_2)
	v_fma_f64 v[48:49], v[32:33], s[0:1], v[28:29]
	v_fma_f64 v[32:33], v[38:39], s[2:3], v[52:53]
	;; [unrolled: 1-line block ×3, first 2 shown]
	v_mul_f64_e32 v[40:41], s[2:3], v[36:37]
	v_mul_f64_e32 v[36:37], -0.5, v[36:37]
	v_add_f64_e32 v[30:31], v[50:51], v[48:49]
	v_add_f64_e32 v[28:29], v[32:33], v[34:35]
	v_add_f64_e64 v[32:33], v[32:33], -v[34:35]
	v_fma_f64 v[40:41], v[38:39], -0.5, v[40:41]
	v_fma_f64 v[46:47], v[38:39], s[0:1], v[36:37]
	v_add_f64_e64 v[34:35], v[50:51], -v[48:49]
	s_delay_alu instid0(VALU_DEP_3) | instskip(NEXT) | instid1(VALU_DEP_3)
	v_add_f64_e32 v[36:37], v[42:43], v[40:41]
	v_add_f64_e32 v[38:39], v[44:45], v[46:47]
	v_add_f64_e64 v[40:41], v[42:43], -v[40:41]
	v_add_f64_e64 v[42:43], v[44:45], -v[46:47]
	scratch_load_b32 v44, off, off offset:1308 th:TH_LOAD_LU ; 4-byte Folded Reload
	s_wait_loadcnt 0x0
	ds_store_b128 v44, v[20:23]
	ds_store_b128 v44, v[28:31] offset:160
	ds_store_b128 v44, v[36:39] offset:320
	;; [unrolled: 1-line block ×5, first 2 shown]
	global_wb scope:SCOPE_SE
	s_wait_dscnt 0x0
	s_barrier_signal -1
	s_barrier_wait -1
	global_inv scope:SCOPE_SE
	ds_load_b128 v[20:23], v216 offset:5760
	scratch_load_b128 v[64:67], off, off offset:1376 th:TH_LOAD_LU ; 16-byte Folded Reload
	s_wait_dscnt 0x0
	v_mul_f64_e32 v[24:25], v[2:3], v[22:23]
	s_delay_alu instid0(VALU_DEP_1) | instskip(SKIP_1) | instid1(VALU_DEP_1)
	v_fma_f64 v[68:69], v[0:1], v[20:21], v[24:25]
	v_mul_f64_e32 v[20:21], v[2:3], v[20:21]
	v_fma_f64 v[70:71], v[0:1], v[22:23], -v[20:21]
	ds_load_b128 v[20:23], v216 offset:6720
	s_wait_dscnt 0x0
	v_mul_f64_e32 v[24:25], v[2:3], v[22:23]
	v_mul_f64_e32 v[2:3], v[2:3], v[20:21]
	s_delay_alu instid0(VALU_DEP_2) | instskip(NEXT) | instid1(VALU_DEP_2)
	v_fma_f64 v[92:93], v[0:1], v[20:21], v[24:25]
	v_fma_f64 v[94:95], v[0:1], v[22:23], -v[2:3]
	ds_load_b128 v[0:3], v216 offset:11520
	s_wait_dscnt 0x0
	v_mul_f64_e32 v[20:21], v[18:19], v[2:3]
	s_delay_alu instid0(VALU_DEP_1) | instskip(SKIP_1) | instid1(VALU_DEP_1)
	v_fma_f64 v[72:73], v[16:17], v[0:1], v[20:21]
	v_mul_f64_e32 v[0:1], v[18:19], v[0:1]
	v_fma_f64 v[74:75], v[16:17], v[2:3], -v[0:1]
	ds_load_b128 v[0:3], v216 offset:12480
	s_wait_dscnt 0x0
	v_mul_f64_e32 v[20:21], v[18:19], v[2:3]
	s_delay_alu instid0(VALU_DEP_1) | instskip(SKIP_1) | instid1(VALU_DEP_1)
	v_fma_f64 v[96:97], v[16:17], v[0:1], v[20:21]
	v_mul_f64_e32 v[0:1], v[18:19], v[0:1]
	;; [unrolled: 7-line block ×3, first 2 shown]
	v_fma_f64 v[78:79], v[12:13], v[2:3], -v[0:1]
	ds_load_b128 v[0:3], v216 offset:18240
	s_wait_dscnt 0x0
	v_mul_f64_e32 v[16:17], v[14:15], v[2:3]
	s_delay_alu instid0(VALU_DEP_1)
	v_fma_f64 v[100:101], v[12:13], v[0:1], v[16:17]
	v_mul_f64_e32 v[0:1], v[14:15], v[0:1]
	scratch_load_b128 v[16:19], off, off offset:1344 th:TH_LOAD_LU ; 16-byte Folded Reload
	v_fma_f64 v[102:103], v[12:13], v[2:3], -v[0:1]
	ds_load_b128 v[0:3], v216 offset:23040
	s_wait_dscnt 0x0
	v_mul_f64_e32 v[12:13], v[10:11], v[2:3]
	s_delay_alu instid0(VALU_DEP_1) | instskip(SKIP_1) | instid1(VALU_DEP_1)
	v_fma_f64 v[80:81], v[8:9], v[0:1], v[12:13]
	v_mul_f64_e32 v[0:1], v[10:11], v[0:1]
	v_fma_f64 v[82:83], v[8:9], v[2:3], -v[0:1]
	ds_load_b128 v[0:3], v216 offset:24000
	s_wait_dscnt 0x0
	v_mul_f64_e32 v[12:13], v[10:11], v[2:3]
	s_delay_alu instid0(VALU_DEP_1)
	v_fma_f64 v[104:105], v[8:9], v[0:1], v[12:13]
	v_mul_f64_e32 v[0:1], v[10:11], v[0:1]
	scratch_load_b128 v[10:13], off, off offset:1328 th:TH_LOAD_LU ; 16-byte Folded Reload
	v_fma_f64 v[106:107], v[8:9], v[2:3], -v[0:1]
	ds_load_b128 v[0:3], v216 offset:28800
	s_wait_dscnt 0x0
	v_mul_f64_e32 v[8:9], v[6:7], v[2:3]
	s_delay_alu instid0(VALU_DEP_1) | instskip(SKIP_1) | instid1(VALU_DEP_1)
	v_fma_f64 v[84:85], v[4:5], v[0:1], v[8:9]
	v_mul_f64_e32 v[0:1], v[6:7], v[0:1]
	v_fma_f64 v[86:87], v[4:5], v[2:3], -v[0:1]
	ds_load_b128 v[0:3], v216 offset:29760
	s_wait_dscnt 0x0
	v_mul_f64_e32 v[8:9], v[6:7], v[2:3]
	s_delay_alu instid0(VALU_DEP_1)
	v_fma_f64 v[108:109], v[4:5], v[0:1], v[8:9]
	v_mul_f64_e32 v[0:1], v[6:7], v[0:1]
	scratch_load_b128 v[6:9], off, off offset:1068 th:TH_LOAD_LU ; 16-byte Folded Reload
	v_fma_f64 v[110:111], v[4:5], v[2:3], -v[0:1]
	ds_load_b128 v[0:3], v216 offset:7680
	s_wait_loadcnt_dscnt 0x0
	v_mul_f64_e32 v[4:5], v[8:9], v[2:3]
	s_delay_alu instid0(VALU_DEP_1) | instskip(SKIP_1) | instid1(VALU_DEP_1)
	v_fma_f64 v[116:117], v[6:7], v[0:1], v[4:5]
	v_mul_f64_e32 v[0:1], v[8:9], v[0:1]
	v_fma_f64 v[118:119], v[6:7], v[2:3], -v[0:1]
	scratch_load_b128 v[6:9], off, off offset:1084 th:TH_LOAD_LU ; 16-byte Folded Reload
	ds_load_b128 v[0:3], v216 offset:13440
	s_wait_loadcnt_dscnt 0x0
	v_mul_f64_e32 v[4:5], v[8:9], v[2:3]
	s_delay_alu instid0(VALU_DEP_1) | instskip(SKIP_1) | instid1(VALU_DEP_1)
	v_fma_f64 v[120:121], v[6:7], v[0:1], v[4:5]
	v_mul_f64_e32 v[0:1], v[8:9], v[0:1]
	v_fma_f64 v[122:123], v[6:7], v[2:3], -v[0:1]
	scratch_load_b128 v[6:9], off, off offset:1100 th:TH_LOAD_LU ; 16-byte Folded Reload
	;; [unrolled: 8-line block ×15, first 2 shown]
	ds_load_b128 v[0:3], v216 offset:10560
	s_wait_loadcnt_dscnt 0x0
	v_mul_f64_e32 v[4:5], v[8:9], v[2:3]
	s_delay_alu instid0(VALU_DEP_1) | instskip(SKIP_1) | instid1(VALU_DEP_1)
	v_fma_f64 v[4:5], v[6:7], v[0:1], v[4:5]
	v_mul_f64_e32 v[0:1], v[8:9], v[0:1]
	v_fma_f64 v[8:9], v[6:7], v[2:3], -v[0:1]
	ds_load_b128 v[0:3], v216 offset:16320
	s_wait_dscnt 0x0
	v_mul_f64_e32 v[6:7], v[12:13], v[2:3]
	s_delay_alu instid0(VALU_DEP_1) | instskip(SKIP_1) | instid1(VALU_DEP_1)
	v_fma_f64 v[6:7], v[10:11], v[0:1], v[6:7]
	v_mul_f64_e32 v[0:1], v[12:13], v[0:1]
	v_fma_f64 v[10:11], v[10:11], v[2:3], -v[0:1]
	ds_load_b128 v[0:3], v216 offset:22080
	s_wait_dscnt 0x0
	v_mul_f64_e32 v[12:13], v[18:19], v[2:3]
	s_delay_alu instid0(VALU_DEP_1)
	v_fma_f64 v[14:15], v[16:17], v[0:1], v[12:13]
	v_mul_f64_e32 v[0:1], v[18:19], v[0:1]
	scratch_load_b128 v[18:21], off, off offset:1360 th:TH_LOAD_LU ; 16-byte Folded Reload
	v_fma_f64 v[12:13], v[16:17], v[2:3], -v[0:1]
	ds_load_b128 v[0:3], v216 offset:27840
	s_wait_loadcnt_dscnt 0x0
	v_mul_f64_e32 v[16:17], v[20:21], v[2:3]
	s_delay_alu instid0(VALU_DEP_1) | instskip(SKIP_1) | instid1(VALU_DEP_1)
	v_fma_f64 v[16:17], v[18:19], v[0:1], v[16:17]
	v_mul_f64_e32 v[0:1], v[20:21], v[0:1]
	v_fma_f64 v[18:19], v[18:19], v[2:3], -v[0:1]
	ds_load_b128 v[0:3], v216 offset:33600
	s_wait_dscnt 0x0
	v_mul_f64_e32 v[20:21], v[66:67], v[2:3]
	s_delay_alu instid0(VALU_DEP_1) | instskip(SKIP_1) | instid1(VALU_DEP_1)
	v_fma_f64 v[22:23], v[64:65], v[0:1], v[20:21]
	v_mul_f64_e32 v[0:1], v[66:67], v[0:1]
	v_fma_f64 v[20:21], v[64:65], v[2:3], -v[0:1]
	v_add_f64_e32 v[64:65], v[72:73], v[80:81]
	ds_load_b128 v[0:3], v216
	s_wait_dscnt 0x0
	v_fma_f64 v[88:89], v[64:65], -0.5, v[0:1]
	v_add_f64_e32 v[64:65], v[74:75], v[82:83]
	v_add_f64_e32 v[0:1], v[0:1], v[72:73]
	s_delay_alu instid0(VALU_DEP_2) | instskip(NEXT) | instid1(VALU_DEP_2)
	v_fma_f64 v[90:91], v[64:65], -0.5, v[2:3]
	v_add_f64_e32 v[64:65], v[0:1], v[80:81]
	v_add_f64_e32 v[0:1], v[68:69], v[76:77]
	;; [unrolled: 1-line block ×3, first 2 shown]
	v_add_f64_e64 v[80:81], v[72:73], -v[80:81]
	s_delay_alu instid0(VALU_DEP_3) | instskip(SKIP_1) | instid1(VALU_DEP_4)
	v_add_f64_e32 v[112:113], v[0:1], v[84:85]
	v_add_f64_e32 v[0:1], v[70:71], v[78:79]
	;; [unrolled: 1-line block ×3, first 2 shown]
	v_add_f64_e64 v[82:83], v[74:75], -v[82:83]
	s_delay_alu instid0(VALU_DEP_3)
	v_add_f64_e32 v[114:115], v[0:1], v[86:87]
	v_add_f64_e32 v[0:1], v[64:65], v[112:113]
	v_add_f64_e64 v[64:65], v[64:65], -v[112:113]
	v_add_f64_e32 v[112:113], v[78:79], v[86:87]
	v_add_f64_e64 v[78:79], v[78:79], -v[86:87]
	;; [unrolled: 2-line block ×3, first 2 shown]
	v_fma_f64 v[114:115], v[80:81], s[0:1], v[90:91]
	v_fma_f64 v[112:113], v[112:113], -0.5, v[70:71]
	v_add_f64_e32 v[70:71], v[76:77], v[84:85]
	v_add_f64_e64 v[76:77], v[76:77], -v[84:85]
	s_delay_alu instid0(VALU_DEP_2) | instskip(NEXT) | instid1(VALU_DEP_2)
	v_fma_f64 v[84:85], v[70:71], -0.5, v[68:69]
	v_fma_f64 v[68:69], v[76:77], s[0:1], v[112:113]
	v_fma_f64 v[76:77], v[76:77], s[2:3], v[112:113]
	s_delay_alu instid0(VALU_DEP_3) | instskip(NEXT) | instid1(VALU_DEP_3)
	v_fma_f64 v[72:73], v[78:79], s[2:3], v[84:85]
	v_mul_f64_e32 v[70:71], s[2:3], v[68:69]
	v_mul_f64_e32 v[68:69], 0.5, v[68:69]
	v_fma_f64 v[78:79], v[78:79], s[0:1], v[84:85]
	s_delay_alu instid0(VALU_DEP_3) | instskip(NEXT) | instid1(VALU_DEP_3)
	v_fma_f64 v[74:75], v[72:73], 0.5, v[70:71]
	v_fma_f64 v[86:87], v[72:73], s[0:1], v[68:69]
	v_fma_f64 v[72:73], v[82:83], s[2:3], v[88:89]
	;; [unrolled: 1-line block ×3, first 2 shown]
	v_add_f64_e32 v[88:89], v[96:97], v[104:105]
	s_delay_alu instid0(VALU_DEP_4) | instskip(NEXT) | instid1(VALU_DEP_4)
	v_add_f64_e32 v[70:71], v[114:115], v[86:87]
	v_add_f64_e32 v[68:69], v[72:73], v[74:75]
	v_add_f64_e64 v[72:73], v[72:73], -v[74:75]
	v_add_f64_e64 v[74:75], v[114:115], -v[86:87]
	v_fma_f64 v[86:87], v[80:81], s[2:3], v[90:91]
	v_mul_f64_e32 v[80:81], s[2:3], v[76:77]
	v_mul_f64_e32 v[76:77], -0.5, v[76:77]
	s_delay_alu instid0(VALU_DEP_2) | instskip(NEXT) | instid1(VALU_DEP_2)
	v_fma_f64 v[80:81], v[78:79], -0.5, v[80:81]
	v_fma_f64 v[84:85], v[78:79], s[0:1], v[76:77]
	s_delay_alu instid0(VALU_DEP_2) | instskip(NEXT) | instid1(VALU_DEP_2)
	v_add_f64_e32 v[76:77], v[82:83], v[80:81]
	v_add_f64_e32 v[78:79], v[86:87], v[84:85]
	v_add_f64_e64 v[80:81], v[82:83], -v[80:81]
	v_add_f64_e64 v[82:83], v[86:87], -v[84:85]
	ds_load_b128 v[84:87], v216 offset:960
	s_wait_dscnt 0x0
	v_fma_f64 v[112:113], v[88:89], -0.5, v[84:85]
	v_add_f64_e32 v[88:89], v[98:99], v[106:107]
	v_add_f64_e32 v[84:85], v[84:85], v[96:97]
	s_delay_alu instid0(VALU_DEP_2) | instskip(NEXT) | instid1(VALU_DEP_2)
	v_fma_f64 v[114:115], v[88:89], -0.5, v[86:87]
	v_add_f64_e32 v[88:89], v[84:85], v[104:105]
	v_add_f64_e32 v[84:85], v[92:93], v[100:101]
	;; [unrolled: 1-line block ×3, first 2 shown]
	v_add_f64_e64 v[104:105], v[96:97], -v[104:105]
	s_delay_alu instid0(VALU_DEP_3) | instskip(SKIP_1) | instid1(VALU_DEP_4)
	v_add_f64_e32 v[136:137], v[84:85], v[108:109]
	v_add_f64_e32 v[84:85], v[94:95], v[102:103]
	;; [unrolled: 1-line block ×3, first 2 shown]
	v_add_f64_e64 v[106:107], v[98:99], -v[106:107]
	s_delay_alu instid0(VALU_DEP_3)
	v_add_f64_e32 v[138:139], v[84:85], v[110:111]
	v_add_f64_e32 v[84:85], v[88:89], v[136:137]
	v_add_f64_e64 v[88:89], v[88:89], -v[136:137]
	v_add_f64_e32 v[136:137], v[102:103], v[110:111]
	v_add_f64_e64 v[102:103], v[102:103], -v[110:111]
	;; [unrolled: 2-line block ×3, first 2 shown]
	v_fma_f64 v[138:139], v[104:105], s[0:1], v[114:115]
	v_fma_f64 v[136:137], v[136:137], -0.5, v[94:95]
	v_add_f64_e32 v[94:95], v[100:101], v[108:109]
	v_add_f64_e64 v[100:101], v[100:101], -v[108:109]
	s_delay_alu instid0(VALU_DEP_2) | instskip(NEXT) | instid1(VALU_DEP_2)
	v_fma_f64 v[108:109], v[94:95], -0.5, v[92:93]
	v_fma_f64 v[92:93], v[100:101], s[0:1], v[136:137]
	v_fma_f64 v[100:101], v[100:101], s[2:3], v[136:137]
	s_delay_alu instid0(VALU_DEP_3) | instskip(NEXT) | instid1(VALU_DEP_3)
	v_fma_f64 v[96:97], v[102:103], s[2:3], v[108:109]
	v_mul_f64_e32 v[94:95], s[2:3], v[92:93]
	v_mul_f64_e32 v[92:93], 0.5, v[92:93]
	v_fma_f64 v[102:103], v[102:103], s[0:1], v[108:109]
	s_delay_alu instid0(VALU_DEP_3) | instskip(NEXT) | instid1(VALU_DEP_3)
	v_fma_f64 v[98:99], v[96:97], 0.5, v[94:95]
	v_fma_f64 v[110:111], v[96:97], s[0:1], v[92:93]
	v_fma_f64 v[96:97], v[106:107], s[2:3], v[112:113]
	;; [unrolled: 1-line block ×3, first 2 shown]
	v_add_f64_e32 v[112:113], v[120:121], v[128:129]
	s_delay_alu instid0(VALU_DEP_4) | instskip(NEXT) | instid1(VALU_DEP_4)
	v_add_f64_e32 v[94:95], v[138:139], v[110:111]
	v_add_f64_e32 v[92:93], v[96:97], v[98:99]
	v_add_f64_e64 v[96:97], v[96:97], -v[98:99]
	v_add_f64_e64 v[98:99], v[138:139], -v[110:111]
	v_fma_f64 v[110:111], v[104:105], s[2:3], v[114:115]
	v_mul_f64_e32 v[104:105], s[2:3], v[100:101]
	v_mul_f64_e32 v[100:101], -0.5, v[100:101]
	s_delay_alu instid0(VALU_DEP_2) | instskip(NEXT) | instid1(VALU_DEP_2)
	v_fma_f64 v[104:105], v[102:103], -0.5, v[104:105]
	v_fma_f64 v[108:109], v[102:103], s[0:1], v[100:101]
	s_delay_alu instid0(VALU_DEP_2) | instskip(NEXT) | instid1(VALU_DEP_2)
	v_add_f64_e32 v[100:101], v[106:107], v[104:105]
	v_add_f64_e32 v[102:103], v[110:111], v[108:109]
	v_add_f64_e64 v[104:105], v[106:107], -v[104:105]
	v_add_f64_e64 v[106:107], v[110:111], -v[108:109]
	ds_load_b128 v[108:111], v216 offset:1920
	s_wait_dscnt 0x0
	v_fma_f64 v[136:137], v[112:113], -0.5, v[108:109]
	v_add_f64_e32 v[112:113], v[122:123], v[130:131]
	v_add_f64_e32 v[108:109], v[108:109], v[120:121]
	s_delay_alu instid0(VALU_DEP_2) | instskip(NEXT) | instid1(VALU_DEP_2)
	v_fma_f64 v[138:139], v[112:113], -0.5, v[110:111]
	v_add_f64_e32 v[112:113], v[108:109], v[128:129]
	v_add_f64_e32 v[108:109], v[116:117], v[124:125]
	;; [unrolled: 1-line block ×3, first 2 shown]
	v_add_f64_e64 v[128:129], v[120:121], -v[128:129]
	s_delay_alu instid0(VALU_DEP_3) | instskip(SKIP_1) | instid1(VALU_DEP_4)
	v_add_f64_e32 v[140:141], v[108:109], v[132:133]
	v_add_f64_e32 v[108:109], v[118:119], v[126:127]
	;; [unrolled: 1-line block ×3, first 2 shown]
	v_add_f64_e64 v[130:131], v[122:123], -v[130:131]
	s_delay_alu instid0(VALU_DEP_3)
	v_add_f64_e32 v[142:143], v[108:109], v[134:135]
	v_add_f64_e32 v[108:109], v[112:113], v[140:141]
	v_add_f64_e64 v[112:113], v[112:113], -v[140:141]
	v_add_f64_e32 v[140:141], v[126:127], v[134:135]
	v_add_f64_e64 v[126:127], v[126:127], -v[134:135]
	;; [unrolled: 2-line block ×3, first 2 shown]
	v_fma_f64 v[142:143], v[128:129], s[0:1], v[138:139]
	v_fma_f64 v[140:141], v[140:141], -0.5, v[118:119]
	v_add_f64_e32 v[118:119], v[124:125], v[132:133]
	v_add_f64_e64 v[124:125], v[124:125], -v[132:133]
	s_delay_alu instid0(VALU_DEP_2) | instskip(NEXT) | instid1(VALU_DEP_2)
	v_fma_f64 v[132:133], v[118:119], -0.5, v[116:117]
	v_fma_f64 v[116:117], v[124:125], s[0:1], v[140:141]
	v_fma_f64 v[124:125], v[124:125], s[2:3], v[140:141]
	s_delay_alu instid0(VALU_DEP_3) | instskip(NEXT) | instid1(VALU_DEP_3)
	v_fma_f64 v[120:121], v[126:127], s[2:3], v[132:133]
	v_mul_f64_e32 v[118:119], s[2:3], v[116:117]
	v_mul_f64_e32 v[116:117], 0.5, v[116:117]
	v_fma_f64 v[126:127], v[126:127], s[0:1], v[132:133]
	s_delay_alu instid0(VALU_DEP_3) | instskip(NEXT) | instid1(VALU_DEP_3)
	v_fma_f64 v[122:123], v[120:121], 0.5, v[118:119]
	v_fma_f64 v[134:135], v[120:121], s[0:1], v[116:117]
	v_fma_f64 v[120:121], v[130:131], s[2:3], v[136:137]
	;; [unrolled: 1-line block ×3, first 2 shown]
	s_delay_alu instid0(VALU_DEP_3) | instskip(NEXT) | instid1(VALU_DEP_3)
	v_add_f64_e32 v[118:119], v[142:143], v[134:135]
	v_add_f64_e32 v[116:117], v[120:121], v[122:123]
	v_add_f64_e64 v[120:121], v[120:121], -v[122:123]
	v_add_f64_e64 v[122:123], v[142:143], -v[134:135]
	v_fma_f64 v[134:135], v[128:129], s[2:3], v[138:139]
	v_mul_f64_e32 v[128:129], s[2:3], v[124:125]
	v_mul_f64_e32 v[124:125], -0.5, v[124:125]
	s_delay_alu instid0(VALU_DEP_2) | instskip(NEXT) | instid1(VALU_DEP_2)
	v_fma_f64 v[128:129], v[126:127], -0.5, v[128:129]
	v_fma_f64 v[132:133], v[126:127], s[0:1], v[124:125]
	s_delay_alu instid0(VALU_DEP_2) | instskip(NEXT) | instid1(VALU_DEP_2)
	v_add_f64_e32 v[124:125], v[130:131], v[128:129]
	v_add_f64_e32 v[126:127], v[134:135], v[132:133]
	v_add_f64_e64 v[128:129], v[130:131], -v[128:129]
	v_add_f64_e64 v[130:131], v[134:135], -v[132:133]
	ds_load_b128 v[132:135], v216 offset:4800
	ds_load_b128 v[136:139], v216 offset:2880
	;; [unrolled: 1-line block ×3, first 2 shown]
	global_wb scope:SCOPE_SE
	s_wait_dscnt 0x0
	s_barrier_signal -1
	s_barrier_wait -1
	global_inv scope:SCOPE_SE
	ds_store_b128 v216, v[0:3]
	ds_store_b128 v216, v[68:71] offset:960
	ds_store_b128 v216, v[76:79] offset:1920
	;; [unrolled: 1-line block ×11, first 2 shown]
	scratch_load_b32 v0, off, off offset:1576 th:TH_LOAD_LU ; 4-byte Folded Reload
	s_wait_loadcnt 0x0
	ds_store_b128 v0, v[108:111] offset:11520
	ds_store_b128 v0, v[116:119] offset:12480
	;; [unrolled: 1-line block ×6, first 2 shown]
	v_add_f64_e32 v[0:1], v[48:49], v[56:57]
	v_add_f64_e32 v[2:3], v[138:139], v[50:51]
	s_delay_alu instid0(VALU_DEP_2) | instskip(SKIP_1) | instid1(VALU_DEP_3)
	v_fma_f64 v[68:69], v[0:1], -0.5, v[136:137]
	v_add_f64_e32 v[0:1], v[50:51], v[58:59]
	v_add_f64_e32 v[66:67], v[2:3], v[58:59]
	v_add_f64_e64 v[58:59], v[50:51], -v[58:59]
	s_delay_alu instid0(VALU_DEP_3) | instskip(SKIP_1) | instid1(VALU_DEP_1)
	v_fma_f64 v[70:71], v[0:1], -0.5, v[138:139]
	v_add_f64_e32 v[0:1], v[136:137], v[48:49]
	v_add_f64_e32 v[64:65], v[0:1], v[56:57]
	;; [unrolled: 1-line block ×3, first 2 shown]
	v_add_f64_e64 v[56:57], v[48:49], -v[56:57]
	s_delay_alu instid0(VALU_DEP_2) | instskip(SKIP_1) | instid1(VALU_DEP_1)
	v_add_f64_e32 v[72:73], v[0:1], v[62:63]
	v_add_f64_e32 v[0:1], v[46:47], v[52:53]
	;; [unrolled: 1-line block ×3, first 2 shown]
	s_delay_alu instid0(VALU_DEP_3)
	v_add_f64_e32 v[0:1], v[64:65], v[72:73]
	v_add_f64_e64 v[64:65], v[64:65], -v[72:73]
	v_add_f64_e32 v[72:73], v[52:53], v[60:61]
	v_add_f64_e64 v[52:53], v[52:53], -v[60:61]
	;; [unrolled: 2-line block ×3, first 2 shown]
	v_fma_f64 v[74:75], v[56:57], s[0:1], v[70:71]
	v_fma_f64 v[72:73], v[72:73], -0.5, v[46:47]
	v_add_f64_e32 v[46:47], v[54:55], v[62:63]
	v_add_f64_e64 v[54:55], v[54:55], -v[62:63]
	s_delay_alu instid0(VALU_DEP_2) | instskip(NEXT) | instid1(VALU_DEP_2)
	v_fma_f64 v[62:63], v[46:47], -0.5, v[44:45]
	v_fma_f64 v[44:45], v[54:55], s[0:1], v[72:73]
	v_fma_f64 v[54:55], v[54:55], s[2:3], v[72:73]
	s_delay_alu instid0(VALU_DEP_3) | instskip(NEXT) | instid1(VALU_DEP_3)
	v_fma_f64 v[48:49], v[52:53], s[2:3], v[62:63]
	v_mul_f64_e32 v[46:47], s[2:3], v[44:45]
	v_mul_f64_e32 v[44:45], 0.5, v[44:45]
	v_fma_f64 v[52:53], v[52:53], s[0:1], v[62:63]
	s_delay_alu instid0(VALU_DEP_3) | instskip(NEXT) | instid1(VALU_DEP_3)
	v_fma_f64 v[50:51], v[48:49], 0.5, v[46:47]
	v_fma_f64 v[60:61], v[48:49], s[0:1], v[44:45]
	v_fma_f64 v[48:49], v[58:59], s[2:3], v[68:69]
	;; [unrolled: 1-line block ×3, first 2 shown]
	s_delay_alu instid0(VALU_DEP_3) | instskip(NEXT) | instid1(VALU_DEP_3)
	v_add_f64_e32 v[46:47], v[74:75], v[60:61]
	v_add_f64_e32 v[44:45], v[48:49], v[50:51]
	v_add_f64_e64 v[48:49], v[48:49], -v[50:51]
	v_add_f64_e64 v[50:51], v[74:75], -v[60:61]
	v_fma_f64 v[60:61], v[56:57], s[2:3], v[70:71]
	v_mul_f64_e32 v[56:57], s[2:3], v[54:55]
	v_mul_f64_e32 v[54:55], -0.5, v[54:55]
	s_delay_alu instid0(VALU_DEP_2) | instskip(NEXT) | instid1(VALU_DEP_2)
	v_fma_f64 v[56:57], v[52:53], -0.5, v[56:57]
	v_fma_f64 v[62:63], v[52:53], s[0:1], v[54:55]
	s_delay_alu instid0(VALU_DEP_2) | instskip(NEXT) | instid1(VALU_DEP_2)
	v_add_f64_e32 v[52:53], v[58:59], v[56:57]
	v_add_f64_e32 v[54:55], v[60:61], v[62:63]
	v_add_f64_e64 v[56:57], v[58:59], -v[56:57]
	v_add_f64_e64 v[58:59], v[60:61], -v[62:63]
	scratch_load_b32 v60, off, off offset:1492 th:TH_LOAD_LU ; 4-byte Folded Reload
	s_wait_loadcnt 0x0
	ds_store_b128 v60, v[0:3] offset:17280
	ds_store_b128 v60, v[44:47] offset:18240
	;; [unrolled: 1-line block ×6, first 2 shown]
	v_add_f64_e32 v[0:1], v[26:27], v[36:37]
	v_add_f64_e32 v[2:3], v[142:143], v[30:31]
	s_delay_alu instid0(VALU_DEP_2) | instskip(SKIP_1) | instid1(VALU_DEP_3)
	v_fma_f64 v[48:49], v[0:1], -0.5, v[140:141]
	v_add_f64_e32 v[0:1], v[30:31], v[38:39]
	v_add_f64_e32 v[46:47], v[2:3], v[38:39]
	v_add_f64_e64 v[38:39], v[30:31], -v[38:39]
	s_delay_alu instid0(VALU_DEP_3) | instskip(SKIP_1) | instid1(VALU_DEP_1)
	v_fma_f64 v[50:51], v[0:1], -0.5, v[142:143]
	v_add_f64_e32 v[0:1], v[140:141], v[26:27]
	v_add_f64_e32 v[44:45], v[0:1], v[36:37]
	;; [unrolled: 1-line block ×3, first 2 shown]
	v_add_f64_e64 v[36:37], v[26:27], -v[36:37]
	s_delay_alu instid0(VALU_DEP_2) | instskip(SKIP_1) | instid1(VALU_DEP_1)
	v_add_f64_e32 v[52:53], v[0:1], v[42:43]
	v_add_f64_e32 v[0:1], v[28:29], v[32:33]
	;; [unrolled: 1-line block ×3, first 2 shown]
	s_delay_alu instid0(VALU_DEP_3)
	v_add_f64_e32 v[0:1], v[44:45], v[52:53]
	v_add_f64_e64 v[44:45], v[44:45], -v[52:53]
	v_add_f64_e32 v[52:53], v[32:33], v[40:41]
	v_add_f64_e64 v[32:33], v[32:33], -v[40:41]
	;; [unrolled: 2-line block ×3, first 2 shown]
	v_fma_f64 v[54:55], v[36:37], s[0:1], v[50:51]
	v_fma_f64 v[52:53], v[52:53], -0.5, v[28:29]
	v_add_f64_e32 v[28:29], v[34:35], v[42:43]
	v_add_f64_e64 v[34:35], v[34:35], -v[42:43]
	s_delay_alu instid0(VALU_DEP_2) | instskip(NEXT) | instid1(VALU_DEP_2)
	v_fma_f64 v[42:43], v[28:29], -0.5, v[24:25]
	v_fma_f64 v[24:25], v[34:35], s[0:1], v[52:53]
	v_fma_f64 v[34:35], v[34:35], s[2:3], v[52:53]
	s_delay_alu instid0(VALU_DEP_3) | instskip(NEXT) | instid1(VALU_DEP_3)
	v_fma_f64 v[28:29], v[32:33], s[2:3], v[42:43]
	v_mul_f64_e32 v[26:27], s[2:3], v[24:25]
	v_mul_f64_e32 v[24:25], 0.5, v[24:25]
	v_fma_f64 v[32:33], v[32:33], s[0:1], v[42:43]
	s_delay_alu instid0(VALU_DEP_3) | instskip(NEXT) | instid1(VALU_DEP_3)
	v_fma_f64 v[30:31], v[28:29], 0.5, v[26:27]
	v_fma_f64 v[40:41], v[28:29], s[0:1], v[24:25]
	v_fma_f64 v[28:29], v[38:39], s[2:3], v[48:49]
	;; [unrolled: 1-line block ×3, first 2 shown]
	s_delay_alu instid0(VALU_DEP_3) | instskip(NEXT) | instid1(VALU_DEP_3)
	v_add_f64_e32 v[26:27], v[54:55], v[40:41]
	v_add_f64_e32 v[24:25], v[28:29], v[30:31]
	v_add_f64_e64 v[28:29], v[28:29], -v[30:31]
	v_add_f64_e64 v[30:31], v[54:55], -v[40:41]
	v_fma_f64 v[40:41], v[36:37], s[2:3], v[50:51]
	v_mul_f64_e32 v[36:37], s[2:3], v[34:35]
	v_mul_f64_e32 v[34:35], -0.5, v[34:35]
	s_delay_alu instid0(VALU_DEP_2) | instskip(NEXT) | instid1(VALU_DEP_2)
	v_fma_f64 v[36:37], v[32:33], -0.5, v[36:37]
	v_fma_f64 v[42:43], v[32:33], s[0:1], v[34:35]
	s_delay_alu instid0(VALU_DEP_2) | instskip(NEXT) | instid1(VALU_DEP_2)
	v_add_f64_e32 v[32:33], v[38:39], v[36:37]
	v_add_f64_e32 v[34:35], v[40:41], v[42:43]
	v_add_f64_e64 v[36:37], v[38:39], -v[36:37]
	v_add_f64_e64 v[38:39], v[40:41], -v[42:43]
	scratch_load_b32 v40, off, off offset:1424 th:TH_LOAD_LU ; 4-byte Folded Reload
	s_wait_loadcnt 0x0
	ds_store_b128 v40, v[0:3] offset:23040
	ds_store_b128 v40, v[24:27] offset:24000
	;; [unrolled: 1-line block ×6, first 2 shown]
	v_add_f64_e32 v[0:1], v[6:7], v[16:17]
	v_add_f64_e32 v[2:3], v[134:135], v[10:11]
	s_delay_alu instid0(VALU_DEP_2) | instskip(SKIP_1) | instid1(VALU_DEP_3)
	v_fma_f64 v[28:29], v[0:1], -0.5, v[132:133]
	v_add_f64_e32 v[0:1], v[10:11], v[18:19]
	v_add_f64_e32 v[26:27], v[2:3], v[18:19]
	v_add_f64_e64 v[18:19], v[10:11], -v[18:19]
	s_delay_alu instid0(VALU_DEP_3) | instskip(SKIP_1) | instid1(VALU_DEP_1)
	v_fma_f64 v[30:31], v[0:1], -0.5, v[134:135]
	v_add_f64_e32 v[0:1], v[132:133], v[6:7]
	v_add_f64_e32 v[24:25], v[0:1], v[16:17]
	;; [unrolled: 1-line block ×3, first 2 shown]
	v_add_f64_e64 v[16:17], v[6:7], -v[16:17]
	s_delay_alu instid0(VALU_DEP_2) | instskip(SKIP_1) | instid1(VALU_DEP_1)
	v_add_f64_e32 v[32:33], v[0:1], v[22:23]
	v_add_f64_e32 v[0:1], v[8:9], v[12:13]
	;; [unrolled: 1-line block ×3, first 2 shown]
	s_delay_alu instid0(VALU_DEP_3)
	v_add_f64_e32 v[0:1], v[24:25], v[32:33]
	v_add_f64_e64 v[24:25], v[24:25], -v[32:33]
	v_add_f64_e32 v[32:33], v[12:13], v[20:21]
	v_add_f64_e64 v[12:13], v[12:13], -v[20:21]
	;; [unrolled: 2-line block ×3, first 2 shown]
	v_fma_f64 v[34:35], v[16:17], s[0:1], v[30:31]
	v_fma_f64 v[32:33], v[32:33], -0.5, v[8:9]
	v_add_f64_e32 v[8:9], v[14:15], v[22:23]
	v_add_f64_e64 v[14:15], v[14:15], -v[22:23]
	s_delay_alu instid0(VALU_DEP_2) | instskip(NEXT) | instid1(VALU_DEP_2)
	v_fma_f64 v[22:23], v[8:9], -0.5, v[4:5]
	v_fma_f64 v[4:5], v[14:15], s[0:1], v[32:33]
	v_fma_f64 v[14:15], v[14:15], s[2:3], v[32:33]
	s_delay_alu instid0(VALU_DEP_3) | instskip(NEXT) | instid1(VALU_DEP_3)
	v_fma_f64 v[8:9], v[12:13], s[2:3], v[22:23]
	v_mul_f64_e32 v[6:7], s[2:3], v[4:5]
	v_mul_f64_e32 v[4:5], 0.5, v[4:5]
	v_fma_f64 v[12:13], v[12:13], s[0:1], v[22:23]
	s_delay_alu instid0(VALU_DEP_3) | instskip(NEXT) | instid1(VALU_DEP_3)
	v_fma_f64 v[10:11], v[8:9], 0.5, v[6:7]
	v_fma_f64 v[20:21], v[8:9], s[0:1], v[4:5]
	v_fma_f64 v[8:9], v[18:19], s[2:3], v[28:29]
	;; [unrolled: 1-line block ×3, first 2 shown]
	s_delay_alu instid0(VALU_DEP_3) | instskip(NEXT) | instid1(VALU_DEP_3)
	v_add_f64_e32 v[6:7], v[34:35], v[20:21]
	v_add_f64_e32 v[4:5], v[8:9], v[10:11]
	v_add_f64_e64 v[8:9], v[8:9], -v[10:11]
	v_add_f64_e64 v[10:11], v[34:35], -v[20:21]
	v_fma_f64 v[20:21], v[16:17], s[2:3], v[30:31]
	v_mul_f64_e32 v[16:17], s[2:3], v[14:15]
	v_mul_f64_e32 v[14:15], -0.5, v[14:15]
	s_delay_alu instid0(VALU_DEP_2) | instskip(NEXT) | instid1(VALU_DEP_2)
	v_fma_f64 v[16:17], v[12:13], -0.5, v[16:17]
	v_fma_f64 v[22:23], v[12:13], s[0:1], v[14:15]
	s_delay_alu instid0(VALU_DEP_2) | instskip(NEXT) | instid1(VALU_DEP_2)
	v_add_f64_e32 v[12:13], v[18:19], v[16:17]
	v_add_f64_e32 v[14:15], v[20:21], v[22:23]
	v_add_f64_e64 v[16:17], v[18:19], -v[16:17]
	v_add_f64_e64 v[18:19], v[20:21], -v[22:23]
	scratch_load_b32 v20, off, off offset:1400 th:TH_LOAD_LU ; 4-byte Folded Reload
	s_wait_loadcnt 0x0
	ds_store_b128 v20, v[4:7] offset:29760
	ds_store_b128 v20, v[12:15] offset:30720
	;; [unrolled: 1-line block ×6, first 2 shown]
	global_wb scope:SCOPE_SE
	s_wait_dscnt 0x0
	s_barrier_signal -1
	s_barrier_wait -1
	global_inv scope:SCOPE_SE
	s_clause 0x3
	scratch_load_b128 v[10:13], off, off offset:1408 th:TH_LOAD_LU
	scratch_load_b128 v[14:17], off, off offset:1428 th:TH_LOAD_LU
	scratch_load_b128 v[18:21], off, off offset:1444 th:TH_LOAD_LU
	scratch_load_b128 v[22:25], off, off offset:1460 th:TH_LOAD_LU
	ds_load_b128 v[0:3], v216 offset:5760
	scratch_load_b128 v[26:29], off, off offset:1476 th:TH_LOAD_LU ; 16-byte Folded Reload
	s_wait_loadcnt_dscnt 0x400
	v_mul_f64_e32 v[4:5], v[12:13], v[2:3]
	s_delay_alu instid0(VALU_DEP_1) | instskip(SKIP_1) | instid1(VALU_DEP_1)
	v_fma_f64 v[8:9], v[10:11], v[0:1], v[4:5]
	v_mul_f64_e32 v[0:1], v[12:13], v[0:1]
	v_fma_f64 v[10:11], v[10:11], v[2:3], -v[0:1]
	ds_load_b128 v[0:3], v216 offset:11520
	s_wait_loadcnt_dscnt 0x300
	v_mul_f64_e32 v[4:5], v[16:17], v[2:3]
	s_delay_alu instid0(VALU_DEP_1) | instskip(SKIP_1) | instid1(VALU_DEP_1)
	v_fma_f64 v[12:13], v[14:15], v[0:1], v[4:5]
	v_mul_f64_e32 v[0:1], v[16:17], v[0:1]
	v_fma_f64 v[14:15], v[14:15], v[2:3], -v[0:1]
	ds_load_b128 v[0:3], v216 offset:17280
	;; [unrolled: 7-line block ×4, first 2 shown]
	s_wait_loadcnt_dscnt 0x0
	v_mul_f64_e32 v[4:5], v[28:29], v[2:3]
	s_delay_alu instid0(VALU_DEP_1)
	v_fma_f64 v[24:25], v[26:27], v[0:1], v[4:5]
	v_mul_f64_e32 v[0:1], v[28:29], v[0:1]
	scratch_load_b128 v[28:31], off, off offset:1496 th:TH_LOAD_LU ; 16-byte Folded Reload
	v_fma_f64 v[26:27], v[26:27], v[2:3], -v[0:1]
	ds_load_b128 v[0:3], v216 offset:6720
	s_wait_loadcnt_dscnt 0x0
	v_mul_f64_e32 v[4:5], v[30:31], v[2:3]
	s_delay_alu instid0(VALU_DEP_1) | instskip(SKIP_1) | instid1(VALU_DEP_1)
	v_fma_f64 v[32:33], v[28:29], v[0:1], v[4:5]
	v_mul_f64_e32 v[0:1], v[30:31], v[0:1]
	v_fma_f64 v[34:35], v[28:29], v[2:3], -v[0:1]
	scratch_load_b128 v[28:31], off, off offset:1512 th:TH_LOAD_LU ; 16-byte Folded Reload
	ds_load_b128 v[0:3], v216 offset:12480
	s_wait_loadcnt_dscnt 0x0
	v_mul_f64_e32 v[4:5], v[30:31], v[2:3]
	s_delay_alu instid0(VALU_DEP_1) | instskip(SKIP_1) | instid1(VALU_DEP_1)
	v_fma_f64 v[36:37], v[28:29], v[0:1], v[4:5]
	v_mul_f64_e32 v[0:1], v[30:31], v[0:1]
	v_fma_f64 v[38:39], v[28:29], v[2:3], -v[0:1]
	scratch_load_b128 v[28:31], off, off offset:1528 th:TH_LOAD_LU ; 16-byte Folded Reload
	;; [unrolled: 8-line block ×24, first 2 shown]
	ds_load_b128 v[0:3], v216 offset:33600
	s_wait_loadcnt_dscnt 0x0
	v_mul_f64_e32 v[4:5], v[30:31], v[2:3]
	s_delay_alu instid0(VALU_DEP_1) | instskip(SKIP_2) | instid1(VALU_DEP_2)
	v_fma_f64 v[66:67], v[28:29], v[0:1], v[4:5]
	v_mul_f64_e32 v[0:1], v[30:31], v[0:1]
	v_add_f64_e32 v[4:5], v[12:13], v[20:21]
	v_fma_f64 v[64:65], v[28:29], v[2:3], -v[0:1]
	ds_load_b128 v[0:3], v216
	s_wait_dscnt 0x0
	v_fma_f64 v[28:29], v[4:5], -0.5, v[0:1]
	v_add_f64_e32 v[4:5], v[14:15], v[22:23]
	v_add_f64_e32 v[0:1], v[0:1], v[12:13]
	v_add_f64_e64 v[12:13], v[12:13], -v[20:21]
	s_delay_alu instid0(VALU_DEP_3) | instskip(NEXT) | instid1(VALU_DEP_3)
	v_fma_f64 v[30:31], v[4:5], -0.5, v[2:3]
	v_add_f64_e32 v[4:5], v[0:1], v[20:21]
	v_add_f64_e32 v[0:1], v[8:9], v[16:17]
	;; [unrolled: 1-line block ×3, first 2 shown]
	v_add_f64_e64 v[14:15], v[14:15], -v[22:23]
	s_delay_alu instid0(VALU_DEP_3) | instskip(SKIP_1) | instid1(VALU_DEP_4)
	v_add_f64_e32 v[92:93], v[0:1], v[24:25]
	v_add_f64_e32 v[0:1], v[10:11], v[18:19]
	;; [unrolled: 1-line block ×3, first 2 shown]
	v_add_f64_e64 v[22:23], v[18:19], -v[26:27]
	s_delay_alu instid0(VALU_DEP_3) | instskip(SKIP_3) | instid1(VALU_DEP_4)
	v_add_f64_e32 v[94:95], v[0:1], v[26:27]
	v_add_f64_e32 v[0:1], v[4:5], v[92:93]
	v_add_f64_e64 v[4:5], v[4:5], -v[92:93]
	v_add_f64_e32 v[92:93], v[18:19], v[26:27]
	v_add_f64_e32 v[2:3], v[6:7], v[94:95]
	v_add_f64_e64 v[6:7], v[6:7], -v[94:95]
	v_fma_f64 v[94:95], v[12:13], s[0:1], v[30:31]
	s_delay_alu instid0(VALU_DEP_4) | instskip(SKIP_2) | instid1(VALU_DEP_2)
	v_fma_f64 v[92:93], v[92:93], -0.5, v[10:11]
	v_add_f64_e32 v[10:11], v[16:17], v[24:25]
	v_add_f64_e64 v[24:25], v[16:17], -v[24:25]
	v_fma_f64 v[20:21], v[10:11], -0.5, v[8:9]
	s_delay_alu instid0(VALU_DEP_2) | instskip(SKIP_1) | instid1(VALU_DEP_3)
	v_fma_f64 v[8:9], v[24:25], s[0:1], v[92:93]
	v_fma_f64 v[24:25], v[24:25], s[2:3], v[92:93]
	;; [unrolled: 1-line block ×3, first 2 shown]
	s_delay_alu instid0(VALU_DEP_3) | instskip(SKIP_1) | instid1(VALU_DEP_2)
	v_mul_f64_e32 v[10:11], s[2:3], v[8:9]
	v_mul_f64_e32 v[8:9], 0.5, v[8:9]
	v_fma_f64 v[10:11], v[16:17], 0.5, v[10:11]
	s_delay_alu instid0(VALU_DEP_2) | instskip(SKIP_2) | instid1(VALU_DEP_3)
	v_fma_f64 v[26:27], v[16:17], s[0:1], v[8:9]
	v_fma_f64 v[8:9], v[14:15], s[2:3], v[28:29]
	;; [unrolled: 1-line block ×3, first 2 shown]
	v_add_f64_e32 v[18:19], v[94:95], v[26:27]
	s_delay_alu instid0(VALU_DEP_3)
	v_add_f64_e32 v[16:17], v[8:9], v[10:11]
	v_add_f64_e64 v[8:9], v[8:9], -v[10:11]
	v_add_f64_e64 v[10:11], v[94:95], -v[26:27]
	v_fma_f64 v[26:27], v[12:13], s[2:3], v[30:31]
	v_fma_f64 v[12:13], v[22:23], s[0:1], v[20:21]
	v_mul_f64_e32 v[20:21], s[2:3], v[24:25]
	v_mul_f64_e32 v[22:23], -0.5, v[24:25]
	s_delay_alu instid0(VALU_DEP_2) | instskip(NEXT) | instid1(VALU_DEP_2)
	v_fma_f64 v[24:25], v[12:13], -0.5, v[20:21]
	v_fma_f64 v[28:29], v[12:13], s[0:1], v[22:23]
	s_delay_alu instid0(VALU_DEP_2) | instskip(NEXT) | instid1(VALU_DEP_2)
	v_add_f64_e32 v[20:21], v[14:15], v[24:25]
	v_add_f64_e32 v[22:23], v[26:27], v[28:29]
	v_add_f64_e64 v[12:13], v[14:15], -v[24:25]
	v_add_f64_e64 v[14:15], v[26:27], -v[28:29]
	v_add_f64_e32 v[28:29], v[36:37], v[44:45]
	ds_load_b128 v[24:27], v216 offset:960
	s_wait_dscnt 0x0
	v_fma_f64 v[92:93], v[28:29], -0.5, v[24:25]
	v_add_f64_e32 v[28:29], v[38:39], v[46:47]
	v_add_f64_e32 v[24:25], v[24:25], v[36:37]
	v_add_f64_e64 v[36:37], v[36:37], -v[44:45]
	s_delay_alu instid0(VALU_DEP_3) | instskip(SKIP_1) | instid1(VALU_DEP_4)
	v_fma_f64 v[94:95], v[28:29], -0.5, v[26:27]
	v_add_f64_e32 v[28:29], v[32:33], v[40:41]
	v_add_f64_e32 v[24:25], v[24:25], v[44:45]
	;; [unrolled: 1-line block ×3, first 2 shown]
	v_add_f64_e64 v[38:39], v[38:39], -v[46:47]
	s_delay_alu instid0(VALU_DEP_4) | instskip(SKIP_1) | instid1(VALU_DEP_4)
	v_add_f64_e32 v[116:117], v[28:29], v[88:89]
	v_add_f64_e32 v[28:29], v[34:35], v[42:43]
	;; [unrolled: 1-line block ×3, first 2 shown]
	v_add_f64_e64 v[46:47], v[42:43], -v[90:91]
	s_delay_alu instid0(VALU_DEP_3) | instskip(SKIP_3) | instid1(VALU_DEP_4)
	v_add_f64_e32 v[118:119], v[28:29], v[90:91]
	v_add_f64_e32 v[28:29], v[24:25], v[116:117]
	v_add_f64_e64 v[24:25], v[24:25], -v[116:117]
	v_add_f64_e32 v[116:117], v[42:43], v[90:91]
	v_add_f64_e32 v[30:31], v[26:27], v[118:119]
	v_add_f64_e64 v[26:27], v[26:27], -v[118:119]
	v_fma_f64 v[118:119], v[36:37], s[0:1], v[94:95]
	s_delay_alu instid0(VALU_DEP_4) | instskip(SKIP_2) | instid1(VALU_DEP_2)
	v_fma_f64 v[116:117], v[116:117], -0.5, v[34:35]
	v_add_f64_e32 v[34:35], v[40:41], v[88:89]
	v_add_f64_e64 v[88:89], v[40:41], -v[88:89]
	v_fma_f64 v[44:45], v[34:35], -0.5, v[32:33]
	s_delay_alu instid0(VALU_DEP_2) | instskip(SKIP_1) | instid1(VALU_DEP_3)
	v_fma_f64 v[32:33], v[88:89], s[0:1], v[116:117]
	v_fma_f64 v[88:89], v[88:89], s[2:3], v[116:117]
	;; [unrolled: 1-line block ×3, first 2 shown]
	s_delay_alu instid0(VALU_DEP_3) | instskip(SKIP_1) | instid1(VALU_DEP_2)
	v_mul_f64_e32 v[34:35], s[2:3], v[32:33]
	v_mul_f64_e32 v[32:33], 0.5, v[32:33]
	v_fma_f64 v[34:35], v[40:41], 0.5, v[34:35]
	s_delay_alu instid0(VALU_DEP_2) | instskip(SKIP_2) | instid1(VALU_DEP_3)
	v_fma_f64 v[90:91], v[40:41], s[0:1], v[32:33]
	v_fma_f64 v[32:33], v[38:39], s[2:3], v[92:93]
	;; [unrolled: 1-line block ×3, first 2 shown]
	v_add_f64_e32 v[42:43], v[118:119], v[90:91]
	s_delay_alu instid0(VALU_DEP_3)
	v_add_f64_e32 v[40:41], v[32:33], v[34:35]
	v_add_f64_e64 v[32:33], v[32:33], -v[34:35]
	v_add_f64_e64 v[34:35], v[118:119], -v[90:91]
	v_fma_f64 v[90:91], v[36:37], s[2:3], v[94:95]
	v_fma_f64 v[36:37], v[46:47], s[0:1], v[44:45]
	v_mul_f64_e32 v[44:45], s[2:3], v[88:89]
	v_mul_f64_e32 v[46:47], -0.5, v[88:89]
	s_delay_alu instid0(VALU_DEP_2) | instskip(NEXT) | instid1(VALU_DEP_2)
	v_fma_f64 v[88:89], v[36:37], -0.5, v[44:45]
	v_fma_f64 v[92:93], v[36:37], s[0:1], v[46:47]
	s_delay_alu instid0(VALU_DEP_2) | instskip(NEXT) | instid1(VALU_DEP_2)
	v_add_f64_e32 v[44:45], v[38:39], v[88:89]
	v_add_f64_e32 v[46:47], v[90:91], v[92:93]
	v_add_f64_e64 v[36:37], v[38:39], -v[88:89]
	v_add_f64_e64 v[38:39], v[90:91], -v[92:93]
	v_add_f64_e32 v[92:93], v[100:101], v[108:109]
	ds_load_b128 v[88:91], v216 offset:1920
	s_wait_dscnt 0x0
	v_fma_f64 v[116:117], v[92:93], -0.5, v[88:89]
	v_add_f64_e32 v[92:93], v[102:103], v[110:111]
	v_add_f64_e32 v[88:89], v[88:89], v[100:101]
	s_delay_alu instid0(VALU_DEP_2) | instskip(NEXT) | instid1(VALU_DEP_2)
	v_fma_f64 v[118:119], v[92:93], -0.5, v[90:91]
	v_add_f64_e32 v[92:93], v[88:89], v[108:109]
	v_add_f64_e32 v[88:89], v[96:97], v[104:105]
	v_add_f64_e32 v[90:91], v[90:91], v[102:103]
	v_add_f64_e64 v[108:109], v[100:101], -v[108:109]
	s_delay_alu instid0(VALU_DEP_3) | instskip(SKIP_1) | instid1(VALU_DEP_4)
	v_add_f64_e32 v[140:141], v[88:89], v[112:113]
	v_add_f64_e32 v[88:89], v[98:99], v[106:107]
	v_add_f64_e32 v[94:95], v[90:91], v[110:111]
	v_add_f64_e64 v[110:111], v[102:103], -v[110:111]
	s_delay_alu instid0(VALU_DEP_3)
	v_add_f64_e32 v[142:143], v[88:89], v[114:115]
	v_add_f64_e32 v[88:89], v[92:93], v[140:141]
	v_add_f64_e64 v[92:93], v[92:93], -v[140:141]
	v_add_f64_e32 v[140:141], v[106:107], v[114:115]
	v_add_f64_e64 v[106:107], v[106:107], -v[114:115]
	v_add_f64_e32 v[90:91], v[94:95], v[142:143]
	v_add_f64_e64 v[94:95], v[94:95], -v[142:143]
	v_fma_f64 v[142:143], v[108:109], s[0:1], v[118:119]
	v_fma_f64 v[140:141], v[140:141], -0.5, v[98:99]
	v_add_f64_e32 v[98:99], v[104:105], v[112:113]
	v_add_f64_e64 v[104:105], v[104:105], -v[112:113]
	s_delay_alu instid0(VALU_DEP_2) | instskip(NEXT) | instid1(VALU_DEP_2)
	v_fma_f64 v[112:113], v[98:99], -0.5, v[96:97]
	v_fma_f64 v[96:97], v[104:105], s[0:1], v[140:141]
	v_fma_f64 v[104:105], v[104:105], s[2:3], v[140:141]
	s_delay_alu instid0(VALU_DEP_3) | instskip(NEXT) | instid1(VALU_DEP_3)
	v_fma_f64 v[100:101], v[106:107], s[2:3], v[112:113]
	v_mul_f64_e32 v[98:99], s[2:3], v[96:97]
	v_mul_f64_e32 v[96:97], 0.5, v[96:97]
	v_fma_f64 v[106:107], v[106:107], s[0:1], v[112:113]
	s_delay_alu instid0(VALU_DEP_3) | instskip(NEXT) | instid1(VALU_DEP_3)
	v_fma_f64 v[102:103], v[100:101], 0.5, v[98:99]
	v_fma_f64 v[114:115], v[100:101], s[0:1], v[96:97]
	v_fma_f64 v[100:101], v[110:111], s[2:3], v[116:117]
	v_fma_f64 v[110:111], v[110:111], s[0:1], v[116:117]
	v_add_f64_e32 v[116:117], v[124:125], v[132:133]
	s_delay_alu instid0(VALU_DEP_4) | instskip(NEXT) | instid1(VALU_DEP_4)
	v_add_f64_e32 v[98:99], v[142:143], v[114:115]
	v_add_f64_e32 v[96:97], v[100:101], v[102:103]
	v_add_f64_e64 v[100:101], v[100:101], -v[102:103]
	v_add_f64_e64 v[102:103], v[142:143], -v[114:115]
	v_fma_f64 v[114:115], v[108:109], s[2:3], v[118:119]
	v_mul_f64_e32 v[108:109], s[2:3], v[104:105]
	v_mul_f64_e32 v[104:105], -0.5, v[104:105]
	s_delay_alu instid0(VALU_DEP_2) | instskip(NEXT) | instid1(VALU_DEP_2)
	v_fma_f64 v[108:109], v[106:107], -0.5, v[108:109]
	v_fma_f64 v[112:113], v[106:107], s[0:1], v[104:105]
	s_delay_alu instid0(VALU_DEP_2) | instskip(NEXT) | instid1(VALU_DEP_2)
	v_add_f64_e32 v[104:105], v[110:111], v[108:109]
	v_add_f64_e32 v[106:107], v[114:115], v[112:113]
	v_add_f64_e64 v[108:109], v[110:111], -v[108:109]
	v_add_f64_e64 v[110:111], v[114:115], -v[112:113]
	ds_load_b128 v[112:115], v216 offset:2880
	s_wait_dscnt 0x0
	v_fma_f64 v[140:141], v[116:117], -0.5, v[112:113]
	v_add_f64_e32 v[116:117], v[126:127], v[134:135]
	v_add_f64_e32 v[112:113], v[112:113], v[124:125]
	s_delay_alu instid0(VALU_DEP_2) | instskip(NEXT) | instid1(VALU_DEP_2)
	v_fma_f64 v[142:143], v[116:117], -0.5, v[114:115]
	v_add_f64_e32 v[116:117], v[112:113], v[132:133]
	v_add_f64_e32 v[112:113], v[120:121], v[128:129]
	v_add_f64_e32 v[114:115], v[114:115], v[126:127]
	v_add_f64_e64 v[132:133], v[124:125], -v[132:133]
	s_delay_alu instid0(VALU_DEP_3) | instskip(SKIP_1) | instid1(VALU_DEP_4)
	v_add_f64_e32 v[144:145], v[112:113], v[136:137]
	v_add_f64_e32 v[112:113], v[122:123], v[130:131]
	v_add_f64_e32 v[118:119], v[114:115], v[134:135]
	v_add_f64_e64 v[134:135], v[126:127], -v[134:135]
	s_delay_alu instid0(VALU_DEP_3)
	v_add_f64_e32 v[146:147], v[112:113], v[138:139]
	v_add_f64_e32 v[112:113], v[116:117], v[144:145]
	v_add_f64_e64 v[116:117], v[116:117], -v[144:145]
	v_add_f64_e32 v[144:145], v[130:131], v[138:139]
	v_add_f64_e64 v[130:131], v[130:131], -v[138:139]
	v_add_f64_e32 v[114:115], v[118:119], v[146:147]
	v_add_f64_e64 v[118:119], v[118:119], -v[146:147]
	v_fma_f64 v[146:147], v[132:133], s[0:1], v[142:143]
	v_fma_f64 v[144:145], v[144:145], -0.5, v[122:123]
	v_add_f64_e32 v[122:123], v[128:129], v[136:137]
	v_add_f64_e64 v[128:129], v[128:129], -v[136:137]
	s_delay_alu instid0(VALU_DEP_2) | instskip(NEXT) | instid1(VALU_DEP_2)
	v_fma_f64 v[136:137], v[122:123], -0.5, v[120:121]
	v_fma_f64 v[120:121], v[128:129], s[0:1], v[144:145]
	v_fma_f64 v[128:129], v[128:129], s[2:3], v[144:145]
	s_delay_alu instid0(VALU_DEP_3) | instskip(NEXT) | instid1(VALU_DEP_3)
	v_fma_f64 v[124:125], v[130:131], s[2:3], v[136:137]
	v_mul_f64_e32 v[122:123], s[2:3], v[120:121]
	v_mul_f64_e32 v[120:121], 0.5, v[120:121]
	v_fma_f64 v[130:131], v[130:131], s[0:1], v[136:137]
	s_delay_alu instid0(VALU_DEP_3) | instskip(NEXT) | instid1(VALU_DEP_3)
	v_fma_f64 v[126:127], v[124:125], 0.5, v[122:123]
	v_fma_f64 v[138:139], v[124:125], s[0:1], v[120:121]
	v_fma_f64 v[124:125], v[134:135], s[2:3], v[140:141]
	v_fma_f64 v[134:135], v[134:135], s[0:1], v[140:141]
	v_add_f64_e32 v[140:141], v[70:71], v[80:81]
	s_delay_alu instid0(VALU_DEP_4) | instskip(NEXT) | instid1(VALU_DEP_4)
	v_add_f64_e32 v[122:123], v[146:147], v[138:139]
	v_add_f64_e32 v[120:121], v[124:125], v[126:127]
	v_add_f64_e64 v[124:125], v[124:125], -v[126:127]
	v_add_f64_e64 v[126:127], v[146:147], -v[138:139]
	v_fma_f64 v[138:139], v[132:133], s[2:3], v[142:143]
	v_mul_f64_e32 v[132:133], s[2:3], v[128:129]
	v_mul_f64_e32 v[128:129], -0.5, v[128:129]
	s_delay_alu instid0(VALU_DEP_2) | instskip(NEXT) | instid1(VALU_DEP_2)
	v_fma_f64 v[132:133], v[130:131], -0.5, v[132:133]
	v_fma_f64 v[136:137], v[130:131], s[0:1], v[128:129]
	s_delay_alu instid0(VALU_DEP_2) | instskip(NEXT) | instid1(VALU_DEP_2)
	v_add_f64_e32 v[128:129], v[134:135], v[132:133]
	v_add_f64_e32 v[130:131], v[138:139], v[136:137]
	v_add_f64_e64 v[132:133], v[134:135], -v[132:133]
	v_add_f64_e64 v[134:135], v[138:139], -v[136:137]
	;; [unrolled: 59-line block ×3, first 2 shown]
	ds_load_b128 v[84:87], v216 offset:4800
	s_wait_dscnt 0x0
	v_fma_f64 v[148:149], v[144:145], -0.5, v[84:85]
	v_add_f64_e32 v[144:145], v[54:55], v[62:63]
	v_add_f64_e32 v[84:85], v[84:85], v[50:51]
	s_delay_alu instid0(VALU_DEP_2) | instskip(NEXT) | instid1(VALU_DEP_2)
	v_fma_f64 v[150:151], v[144:145], -0.5, v[86:87]
	v_add_f64_e32 v[144:145], v[84:85], v[60:61]
	v_add_f64_e32 v[84:85], v[48:49], v[58:59]
	;; [unrolled: 1-line block ×3, first 2 shown]
	v_add_f64_e64 v[60:61], v[50:51], -v[60:61]
	s_delay_alu instid0(VALU_DEP_3) | instskip(SKIP_1) | instid1(VALU_DEP_4)
	v_add_f64_e32 v[152:153], v[84:85], v[66:67]
	v_add_f64_e32 v[84:85], v[52:53], v[56:57]
	;; [unrolled: 1-line block ×3, first 2 shown]
	v_add_f64_e64 v[62:63], v[54:55], -v[62:63]
	s_delay_alu instid0(VALU_DEP_3)
	v_add_f64_e32 v[154:155], v[84:85], v[64:65]
	v_add_f64_e32 v[84:85], v[144:145], v[152:153]
	v_add_f64_e64 v[144:145], v[144:145], -v[152:153]
	v_add_f64_e32 v[152:153], v[56:57], v[64:65]
	v_add_f64_e64 v[56:57], v[56:57], -v[64:65]
	;; [unrolled: 2-line block ×3, first 2 shown]
	v_fma_f64 v[154:155], v[60:61], s[0:1], v[150:151]
	v_fma_f64 v[152:153], v[152:153], -0.5, v[52:53]
	v_add_f64_e32 v[52:53], v[58:59], v[66:67]
	v_add_f64_e64 v[58:59], v[58:59], -v[66:67]
	s_delay_alu instid0(VALU_DEP_2) | instskip(NEXT) | instid1(VALU_DEP_2)
	v_fma_f64 v[66:67], v[52:53], -0.5, v[48:49]
	v_fma_f64 v[48:49], v[58:59], s[0:1], v[152:153]
	v_fma_f64 v[58:59], v[58:59], s[2:3], v[152:153]
	s_delay_alu instid0(VALU_DEP_3) | instskip(NEXT) | instid1(VALU_DEP_3)
	v_fma_f64 v[52:53], v[56:57], s[2:3], v[66:67]
	v_mul_f64_e32 v[50:51], s[2:3], v[48:49]
	v_mul_f64_e32 v[48:49], 0.5, v[48:49]
	v_fma_f64 v[56:57], v[56:57], s[0:1], v[66:67]
	s_delay_alu instid0(VALU_DEP_3) | instskip(NEXT) | instid1(VALU_DEP_3)
	v_fma_f64 v[54:55], v[52:53], 0.5, v[50:51]
	v_fma_f64 v[64:65], v[52:53], s[0:1], v[48:49]
	v_fma_f64 v[52:53], v[62:63], s[2:3], v[148:149]
	;; [unrolled: 1-line block ×3, first 2 shown]
	s_delay_alu instid0(VALU_DEP_3) | instskip(NEXT) | instid1(VALU_DEP_3)
	v_add_f64_e32 v[50:51], v[154:155], v[64:65]
	v_add_f64_e32 v[48:49], v[52:53], v[54:55]
	v_add_f64_e64 v[52:53], v[52:53], -v[54:55]
	v_add_f64_e64 v[54:55], v[154:155], -v[64:65]
	v_fma_f64 v[64:65], v[60:61], s[2:3], v[150:151]
	v_mul_f64_e32 v[60:61], s[2:3], v[58:59]
	v_mul_f64_e32 v[58:59], -0.5, v[58:59]
	s_mov_b32 s2, 0xc901e574
	s_mov_b32 s3, 0x3f3e573a
	s_delay_alu instid0(VALU_DEP_2) | instskip(NEXT) | instid1(VALU_DEP_2)
	v_fma_f64 v[60:61], v[56:57], -0.5, v[60:61]
	v_fma_f64 v[66:67], v[56:57], s[0:1], v[58:59]
	s_delay_alu instid0(VALU_DEP_2) | instskip(NEXT) | instid1(VALU_DEP_2)
	v_add_f64_e32 v[56:57], v[62:63], v[60:61]
	v_add_f64_e32 v[58:59], v[64:65], v[66:67]
	v_add_f64_e64 v[60:61], v[62:63], -v[60:61]
	v_add_f64_e64 v[62:63], v[64:65], -v[66:67]
	ds_store_b128 v216, v[28:31] offset:960
	ds_store_b128 v216, v[88:91] offset:1920
	;; [unrolled: 1-line block ×34, first 2 shown]
	ds_store_b128 v216, v[0:3]
	ds_store_b128 v216, v[60:63] offset:33600
	global_wb scope:SCOPE_SE
	s_wait_dscnt 0x0
	s_barrier_signal -1
	s_barrier_wait -1
	global_inv scope:SCOPE_SE
	s_clause 0x6
	scratch_load_b128 v[6:9], off, off offset:492 th:TH_LOAD_LU
	scratch_load_b128 v[26:29], off, off offset:508 th:TH_LOAD_LU
	;; [unrolled: 1-line block ×7, first 2 shown]
	ds_load_b128 v[0:3], v216
	s_clause 0xd
	scratch_load_b128 v[34:37], off, off offset:444 th:TH_LOAD_LU
	scratch_load_b128 v[46:49], off, off offset:428 th:TH_LOAD_LU
	;; [unrolled: 1-line block ×14, first 2 shown]
	s_wait_loadcnt_dscnt 0x1400
	v_mul_f64_e32 v[4:5], v[8:9], v[2:3]
	s_delay_alu instid0(VALU_DEP_1) | instskip(SKIP_1) | instid1(VALU_DEP_1)
	v_fma_f64 v[4:5], v[6:7], v[0:1], v[4:5]
	v_mul_f64_e32 v[0:1], v[8:9], v[0:1]
	v_fma_f64 v[6:7], v[6:7], v[2:3], -v[0:1]
	ds_load_b128 v[0:3], v216 offset:3456
	s_wait_loadcnt_dscnt 0x1200
	v_mul_f64_e32 v[8:9], v[12:13], v[2:3]
	s_delay_alu instid0(VALU_DEP_1) | instskip(SKIP_1) | instid1(VALU_DEP_1)
	v_fma_f64 v[8:9], v[10:11], v[0:1], v[8:9]
	v_mul_f64_e32 v[0:1], v[12:13], v[0:1]
	v_fma_f64 v[10:11], v[10:11], v[2:3], -v[0:1]
	ds_load_b128 v[0:3], v216 offset:6912
	;; [unrolled: 7-line block ×5, first 2 shown]
	s_wait_dscnt 0x0
	v_mul_f64_e32 v[24:25], v[28:29], v[2:3]
	s_delay_alu instid0(VALU_DEP_1) | instskip(SKIP_1) | instid1(VALU_DEP_1)
	v_fma_f64 v[24:25], v[26:27], v[0:1], v[24:25]
	v_mul_f64_e32 v[0:1], v[28:29], v[0:1]
	v_fma_f64 v[26:27], v[26:27], v[2:3], -v[0:1]
	ds_load_b128 v[0:3], v216 offset:20736
	s_wait_dscnt 0x0
	v_mul_f64_e32 v[28:29], v[32:33], v[2:3]
	s_delay_alu instid0(VALU_DEP_1) | instskip(SKIP_1) | instid1(VALU_DEP_1)
	v_fma_f64 v[28:29], v[30:31], v[0:1], v[28:29]
	v_mul_f64_e32 v[0:1], v[32:33], v[0:1]
	v_fma_f64 v[30:31], v[30:31], v[2:3], -v[0:1]
	ds_load_b128 v[0:3], v216 offset:24192
	s_wait_loadcnt_dscnt 0xd00
	v_mul_f64_e32 v[32:33], v[36:37], v[2:3]
	s_delay_alu instid0(VALU_DEP_1) | instskip(SKIP_1) | instid1(VALU_DEP_1)
	v_fma_f64 v[32:33], v[34:35], v[0:1], v[32:33]
	v_mul_f64_e32 v[0:1], v[36:37], v[0:1]
	v_fma_f64 v[34:35], v[34:35], v[2:3], -v[0:1]
	ds_load_b128 v[0:3], v216 offset:27648
	s_wait_loadcnt_dscnt 0xb00
	;; [unrolled: 7-line block ×3, first 2 shown]
	v_mul_f64_e32 v[40:41], v[44:45], v[2:3]
	s_delay_alu instid0(VALU_DEP_1) | instskip(SKIP_1) | instid1(VALU_DEP_1)
	v_fma_f64 v[40:41], v[42:43], v[0:1], v[40:41]
	v_mul_f64_e32 v[0:1], v[44:45], v[0:1]
	v_fma_f64 v[42:43], v[42:43], v[2:3], -v[0:1]
	ds_load_b128 v[0:3], v216 offset:960
	s_wait_dscnt 0x0
	v_mul_f64_e32 v[44:45], v[48:49], v[2:3]
	s_delay_alu instid0(VALU_DEP_1) | instskip(SKIP_1) | instid1(VALU_DEP_1)
	v_fma_f64 v[44:45], v[46:47], v[0:1], v[44:45]
	v_mul_f64_e32 v[0:1], v[48:49], v[0:1]
	v_fma_f64 v[46:47], v[46:47], v[2:3], -v[0:1]
	ds_load_b128 v[0:3], v216 offset:4416
	s_wait_loadcnt_dscnt 0x800
	v_mul_f64_e32 v[48:49], v[52:53], v[2:3]
	s_delay_alu instid0(VALU_DEP_1) | instskip(SKIP_1) | instid1(VALU_DEP_1)
	v_fma_f64 v[48:49], v[50:51], v[0:1], v[48:49]
	v_mul_f64_e32 v[0:1], v[52:53], v[0:1]
	v_fma_f64 v[50:51], v[50:51], v[2:3], -v[0:1]
	ds_load_b128 v[0:3], v216 offset:7872
	s_wait_dscnt 0x0
	v_mul_f64_e32 v[52:53], v[56:57], v[2:3]
	s_delay_alu instid0(VALU_DEP_1) | instskip(SKIP_1) | instid1(VALU_DEP_1)
	v_fma_f64 v[52:53], v[54:55], v[0:1], v[52:53]
	v_mul_f64_e32 v[0:1], v[56:57], v[0:1]
	v_fma_f64 v[54:55], v[54:55], v[2:3], -v[0:1]
	ds_load_b128 v[0:3], v216 offset:11328
	s_wait_loadcnt_dscnt 0x700
	v_mul_f64_e32 v[56:57], v[60:61], v[2:3]
	s_delay_alu instid0(VALU_DEP_1) | instskip(SKIP_1) | instid1(VALU_DEP_1)
	v_fma_f64 v[56:57], v[58:59], v[0:1], v[56:57]
	v_mul_f64_e32 v[0:1], v[60:61], v[0:1]
	v_fma_f64 v[58:59], v[58:59], v[2:3], -v[0:1]
	ds_load_b128 v[0:3], v216 offset:14784
	s_wait_loadcnt_dscnt 0x500
	v_mul_f64_e32 v[60:61], v[64:65], v[2:3]
	s_delay_alu instid0(VALU_DEP_1) | instskip(SKIP_1) | instid1(VALU_DEP_1)
	v_fma_f64 v[60:61], v[62:63], v[0:1], v[60:61]
	v_mul_f64_e32 v[0:1], v[64:65], v[0:1]
	v_fma_f64 v[62:63], v[62:63], v[2:3], -v[0:1]
	ds_load_b128 v[0:3], v216 offset:18240
	s_wait_dscnt 0x0
	v_mul_f64_e32 v[64:65], v[68:69], v[2:3]
	s_delay_alu instid0(VALU_DEP_1) | instskip(SKIP_1) | instid1(VALU_DEP_1)
	v_fma_f64 v[64:65], v[66:67], v[0:1], v[64:65]
	v_mul_f64_e32 v[0:1], v[68:69], v[0:1]
	v_fma_f64 v[66:67], v[66:67], v[2:3], -v[0:1]
	ds_load_b128 v[0:3], v216 offset:21696
	s_wait_loadcnt_dscnt 0x300
	;; [unrolled: 21-line block ×3, first 2 shown]
	v_mul_f64_e32 v[80:81], v[84:85], v[2:3]
	s_delay_alu instid0(VALU_DEP_1) | instskip(SKIP_1) | instid1(VALU_DEP_1)
	v_fma_f64 v[80:81], v[82:83], v[0:1], v[80:81]
	v_mul_f64_e32 v[0:1], v[84:85], v[0:1]
	v_fma_f64 v[82:83], v[82:83], v[2:3], -v[0:1]
	ds_load_b128 v[0:3], v216 offset:1920
	s_wait_loadcnt_dscnt 0x0
	v_mul_f64_e32 v[84:85], v[88:89], v[2:3]
	s_delay_alu instid0(VALU_DEP_1) | instskip(SKIP_1) | instid1(VALU_DEP_1)
	v_fma_f64 v[84:85], v[86:87], v[0:1], v[84:85]
	v_mul_f64_e32 v[0:1], v[88:89], v[0:1]
	v_fma_f64 v[86:87], v[86:87], v[2:3], -v[0:1]
	scratch_load_b64 v[0:1], off, off offset:76 th:TH_LOAD_LU ; 8-byte Folded Reload
	s_wait_alu 0xfffe
	v_mul_f64_e32 v[2:3], s[2:3], v[6:7]
	scratch_load_b32 v6, off, off th:TH_LOAD_LU ; 4-byte Folded Reload
	s_wait_loadcnt 0x1
	v_mov_b32_e32 v1, v0
	s_delay_alu instid0(VALU_DEP_1) | instskip(NEXT) | instid1(VALU_DEP_1)
	v_mad_co_u64_u32 v[88:89], null, s6, v1, 0
	v_mov_b32_e32 v0, v89
	s_delay_alu instid0(VALU_DEP_1) | instskip(NEXT) | instid1(VALU_DEP_1)
	v_mad_co_u64_u32 v[0:1], null, s7, v1, v[0:1]
	v_mov_b32_e32 v89, v0
	v_mul_f64_e32 v[0:1], s[2:3], v[4:5]
	s_wait_loadcnt 0x0
	v_mad_co_u64_u32 v[4:5], null, s4, v6, 0
	s_delay_alu instid0(VALU_DEP_1) | instskip(SKIP_1) | instid1(VALU_DEP_2)
	v_mad_co_u64_u32 v[5:6], null, s5, v6, v[5:6]
	v_lshlrev_b64_e32 v[6:7], 4, v[88:89]
	v_lshlrev_b64_e32 v[4:5], 4, v[4:5]
	s_delay_alu instid0(VALU_DEP_2) | instskip(SKIP_1) | instid1(VALU_DEP_3)
	v_add_co_u32 v92, s0, s8, v6
	s_wait_alu 0xf1ff
	v_add_co_ci_u32_e64 v93, s0, s9, v7, s0
	v_mul_f64_e32 v[6:7], s[2:3], v[30:31]
	s_delay_alu instid0(VALU_DEP_3) | instskip(SKIP_1) | instid1(VALU_DEP_3)
	v_add_co_u32 v4, s0, v92, v4
	s_wait_alu 0xf1ff
	v_add_co_ci_u32_e64 v5, s0, v93, v5, s0
	s_mul_u64 s[0:1], s[4:5], 0xd8
	s_wait_alu 0xfffe
	s_lshl_b64 s[6:7], s[0:1], 4
	global_store_b128 v[4:5], v[0:3], off
	v_mul_f64_e32 v[0:1], s[2:3], v[8:9]
	v_mul_f64_e32 v[2:3], s[2:3], v[10:11]
	s_wait_alu 0xfffe
	v_add_co_u32 v4, s0, v4, s6
	s_wait_alu 0xf1ff
	v_add_co_ci_u32_e64 v5, s0, s7, v5, s0
	v_mul_f64_e32 v[10:11], s[2:3], v[38:39]
	global_store_b128 v[4:5], v[0:3], off
	v_mul_f64_e32 v[0:1], s[2:3], v[12:13]
	v_mul_f64_e32 v[2:3], s[2:3], v[14:15]
	v_add_co_u32 v4, s0, v4, s6
	s_wait_alu 0xf1ff
	v_add_co_ci_u32_e64 v5, s0, s7, v5, s0
	global_store_b128 v[4:5], v[0:3], off
	v_mul_f64_e32 v[0:1], s[2:3], v[16:17]
	v_mul_f64_e32 v[2:3], s[2:3], v[18:19]
	v_add_co_u32 v4, s0, v4, s6
	s_wait_alu 0xf1ff
	v_add_co_ci_u32_e64 v5, s0, s7, v5, s0
	s_delay_alu instid0(VALU_DEP_2) | instskip(SKIP_1) | instid1(VALU_DEP_2)
	v_add_co_u32 v8, s0, v4, s6
	s_wait_alu 0xf1ff
	v_add_co_ci_u32_e64 v9, s0, s7, v5, s0
	s_delay_alu instid0(VALU_DEP_2) | instskip(SKIP_1) | instid1(VALU_DEP_2)
	;; [unrolled: 4-line block ×3, first 2 shown]
	v_add_co_u32 v18, s0, v12, s6
	s_wait_alu 0xf1ff
	v_add_co_ci_u32_e64 v19, s0, s7, v13, s0
	global_store_b128 v[4:5], v[0:3], off
	v_mul_f64_e32 v[0:1], s[2:3], v[20:21]
	v_mul_f64_e32 v[2:3], s[2:3], v[22:23]
	;; [unrolled: 1-line block ×3, first 2 shown]
	v_add_co_u32 v28, s0, v18, s6
	s_wait_alu 0xf1ff
	v_add_co_ci_u32_e64 v29, s0, s7, v19, s0
	v_mul_f64_e32 v[20:21], s[2:3], v[52:53]
	v_mul_f64_e32 v[22:23], s[2:3], v[54:55]
	global_store_b128 v[8:9], v[0:3], off
	scratch_load_b32 v8, off, off offset:84 th:TH_LOAD_LU ; 4-byte Folded Reload
	v_mul_f64_e32 v[0:1], s[2:3], v[24:25]
	v_mul_f64_e32 v[2:3], s[2:3], v[26:27]
	ds_load_b128 v[24:27], v216 offset:8832
	global_store_b128 v[12:13], v[0:3], off
	global_store_b128 v[18:19], v[4:7], off
	v_mul_f64_e32 v[4:5], s[2:3], v[40:41]
	scratch_load_b128 v[38:41], off, off offset:172 th:TH_LOAD_LU ; 16-byte Folded Reload
	v_mul_f64_e32 v[0:1], s[2:3], v[32:33]
	v_mul_f64_e32 v[6:7], s[2:3], v[42:43]
	;; [unrolled: 1-line block ×5, first 2 shown]
	s_wait_loadcnt 0x1
	v_mad_co_u64_u32 v[16:17], null, s4, v8, 0
	s_delay_alu instid0(VALU_DEP_1) | instskip(NEXT) | instid1(VALU_DEP_1)
	v_mov_b32_e32 v2, v17
	v_mad_co_u64_u32 v[14:15], null, s5, v8, v[2:3]
	v_mul_f64_e32 v[2:3], s[2:3], v[34:35]
	v_mul_f64_e32 v[8:9], s[2:3], v[36:37]
	v_mad_co_u64_u32 v[36:37], null, 0x1b00, s4, v[28:29]
	s_delay_alu instid0(VALU_DEP_4) | instskip(SKIP_3) | instid1(VALU_DEP_1)
	v_mov_b32_e32 v17, v14
	ds_load_b128 v[12:15], v216 offset:5376
	v_add_nc_u32_e32 v37, s10, v37
	v_lshlrev_b64_e32 v[16:17], 4, v[16:17]
	v_add_co_u32 v32, s0, v92, v16
	s_wait_alu 0xf1ff
	s_delay_alu instid0(VALU_DEP_2)
	v_add_co_ci_u32_e64 v33, s0, v93, v17, s0
	v_mul_f64_e32 v[16:17], s[2:3], v[44:45]
	s_movk_i32 s0, 0xf8a4
	s_mov_b32 s1, -1
	s_wait_alu 0xfffe
	s_mul_u64 s[0:1], s[4:5], s[0:1]
	s_wait_alu 0xfffe
	s_lshl_b64 s[8:9], s[0:1], 4
	s_wait_loadcnt_dscnt 0x0
	v_mul_f64_e32 v[30:31], v[40:41], v[14:15]
	v_mul_f64_e32 v[34:35], v[40:41], v[12:13]
	global_store_b128 v[28:29], v[0:3], off
	v_mul_f64_e32 v[0:1], s[2:3], v[48:49]
	v_mul_f64_e32 v[2:3], s[2:3], v[50:51]
	;; [unrolled: 1-line block ×4, first 2 shown]
	v_fma_f64 v[52:53], v[38:39], v[12:13], v[30:31]
	v_fma_f64 v[54:55], v[38:39], v[14:15], -v[34:35]
	ds_load_b128 v[12:15], v216 offset:33024
	ds_load_b128 v[28:31], v216 offset:12288
	s_clause 0x1
	scratch_load_b128 v[94:97], off, off offset:140 th:TH_LOAD_LU
	scratch_load_b128 v[102:105], off, off offset:236 th:TH_LOAD_LU
	global_store_b128 v[32:33], v[8:11], off
	v_mul_f64_e32 v[32:33], s[2:3], v[60:61]
	v_mul_f64_e32 v[34:35], s[2:3], v[62:63]
	s_wait_alu 0xfffe
	v_add_co_u32 v38, s0, v36, s8
	s_wait_alu 0xf1ff
	v_add_co_ci_u32_e64 v39, s0, s9, v37, s0
	global_store_b128 v[36:37], v[4:7], off
	v_add_co_u32 v40, s0, v38, s6
	global_store_b128 v[38:39], v[16:19], off
	v_mul_f64_e32 v[16:17], s[2:3], v[56:57]
	v_mul_f64_e32 v[18:19], s[2:3], v[58:59]
	ds_load_b128 v[4:7], v216 offset:19200
	s_wait_alu 0xf1ff
	v_add_co_ci_u32_e64 v41, s0, s7, v39, s0
	v_add_co_u32 v44, s0, v40, s6
	v_mul_f64_e32 v[36:37], s[2:3], v[64:65]
	s_wait_alu 0xf1ff
	s_delay_alu instid0(VALU_DEP_3) | instskip(NEXT) | instid1(VALU_DEP_3)
	v_add_co_ci_u32_e64 v45, s0, s7, v41, s0
	v_add_co_u32 v56, s0, v44, s6
	global_store_b128 v[40:41], v[0:3], off
	ds_load_b128 v[0:3], v216 offset:15744
	s_wait_alu 0xf1ff
	v_add_co_ci_u32_e64 v57, s0, s7, v45, s0
	v_add_co_u32 v58, s0, v56, s6
	global_store_b128 v[44:45], v[20:23], off
	s_wait_alu 0xf1ff
	v_add_co_ci_u32_e64 v59, s0, s7, v57, s0
	v_add_co_u32 v64, s0, v58, s6
	v_mul_f64_e32 v[44:45], s[2:3], v[72:73]
	s_wait_alu 0xf1ff
	s_delay_alu instid0(VALU_DEP_3)
	v_add_co_ci_u32_e64 v65, s0, s7, v59, s0
	v_mul_f64_e32 v[38:39], s[2:3], v[66:67]
	v_mul_f64_e32 v[40:41], s[2:3], v[68:69]
	ds_load_b128 v[8:11], v216 offset:26112
	ds_load_b128 v[20:23], v216 offset:22656
	scratch_load_b128 v[76:79], off, off offset:92 th:TH_LOAD_LU ; 16-byte Folded Reload
	global_store_b128 v[56:57], v[16:19], off
	global_store_b128 v[58:59], v[32:35], off
	v_add_co_u32 v16, s0, v64, s6
	s_wait_alu 0xf1ff
	v_add_co_ci_u32_e64 v17, s0, s7, v65, s0
	v_mul_f64_e32 v[18:19], s[2:3], v[82:83]
	v_mul_f64_e32 v[32:33], s[2:3], v[84:85]
	;; [unrolled: 1-line block ×3, first 2 shown]
	global_store_b128 v[64:65], v[36:39], off
	global_store_b128 v[16:17], v[40:43], off
	v_add_co_u32 v16, s0, v16, s6
	s_wait_alu 0xf1ff
	v_add_co_ci_u32_e64 v17, s0, s7, v17, s0
	s_delay_alu instid0(VALU_DEP_2) | instskip(SKIP_1) | instid1(VALU_DEP_2)
	v_add_co_u32 v42, s0, v16, s6
	s_wait_alu 0xf1ff
	v_add_co_ci_u32_e64 v43, s0, s7, v17, s0
	global_store_b128 v[16:17], v[44:47], off
	v_mul_f64_e32 v[16:17], s[2:3], v[80:81]
	global_store_b128 v[42:43], v[48:51], off
	s_wait_loadcnt 0x2
	v_mul_f64_e32 v[88:89], v[96:97], v[26:27]
	v_mul_f64_e32 v[90:91], v[96:97], v[24:25]
	s_wait_loadcnt_dscnt 0x101
	v_mul_f64_e32 v[64:65], v[104:105], v[10:11]
	v_mul_f64_e32 v[40:41], v[104:105], v[8:9]
	scratch_load_b128 v[104:107], off, off offset:348 th:TH_LOAD_LU ; 16-byte Folded Reload
	v_fma_f64 v[60:61], v[94:95], v[24:25], v[88:89]
	v_fma_f64 v[62:63], v[94:95], v[26:27], -v[90:91]
	s_clause 0x1
	scratch_load_b128 v[88:91], off, off offset:108 th:TH_LOAD_LU
	scratch_load_b128 v[94:97], off, off offset:124 th:TH_LOAD_LU
	ds_load_b128 v[24:27], v216 offset:29568
	s_wait_loadcnt 0x2
	v_mul_f64_e32 v[74:75], v[106:107], v[14:15]
	v_mul_f64_e32 v[48:49], v[106:107], v[12:13]
	s_wait_loadcnt 0x1
	v_mul_f64_e32 v[68:69], v[90:91], v[2:3]
	s_wait_loadcnt 0x0
	v_mul_f64_e32 v[58:59], v[96:97], v[6:7]
	v_mul_f64_e32 v[72:73], v[96:97], v[4:5]
	scratch_load_b128 v[96:99], off, off offset:156 th:TH_LOAD_LU ; 16-byte Folded Reload
	v_mul_f64_e32 v[70:71], v[90:91], v[0:1]
	v_fma_f64 v[58:59], v[94:95], v[4:5], v[58:59]
	v_add_co_u32 v4, s0, v42, s6
	s_wait_alu 0xf1ff
	v_add_co_ci_u32_e64 v5, s0, s7, v43, s0
	global_store_b128 v[4:5], v[16:19], off
	s_wait_loadcnt_dscnt 0x1
	v_mul_f64_e32 v[36:37], v[98:99], v[22:23]
	v_mul_f64_e32 v[38:39], v[98:99], v[20:21]
	scratch_load_b128 v[98:101], off, off offset:188 th:TH_LOAD_LU ; 16-byte Folded Reload
	v_fma_f64 v[20:21], v[96:97], v[20:21], v[36:37]
	v_fma_f64 v[36:37], v[102:103], v[8:9], v[64:65]
	scratch_load_b32 v9, off, off offset:88 th:TH_LOAD_LU ; 4-byte Folded Reload
	v_mul_f64_e32 v[66:67], v[78:79], v[30:31]
	v_mul_f64_e32 v[56:57], v[78:79], v[28:29]
	v_fma_f64 v[22:23], v[96:97], v[22:23], -v[38:39]
	v_fma_f64 v[38:39], v[102:103], v[10:11], -v[40:41]
	v_fma_f64 v[40:41], v[104:105], v[12:13], v[74:75]
	v_mul_f64_e32 v[12:13], s[2:3], v[58:59]
	v_mul_f64_e32 v[16:17], s[2:3], v[20:21]
	;; [unrolled: 1-line block ×3, first 2 shown]
	v_fma_f64 v[50:51], v[76:77], v[28:29], v[66:67]
	v_fma_f64 v[56:57], v[76:77], v[30:31], -v[56:57]
	v_mul_f64_e32 v[28:29], s[2:3], v[52:53]
	v_fma_f64 v[52:53], v[88:89], v[0:1], v[68:69]
	v_mul_f64_e32 v[30:31], s[2:3], v[54:55]
	v_fma_f64 v[54:55], v[88:89], v[2:3], -v[70:71]
	v_mul_f64_e32 v[0:1], s[2:3], v[60:61]
	v_fma_f64 v[60:61], v[94:95], v[6:7], -v[72:73]
	v_mul_f64_e32 v[2:3], s[2:3], v[62:63]
	v_mul_f64_e32 v[18:19], s[2:3], v[22:23]
	;; [unrolled: 1-line block ×6, first 2 shown]
	s_wait_loadcnt_dscnt 0x100
	v_mul_f64_e32 v[44:45], v[100:101], v[26:27]
	v_mul_f64_e32 v[46:47], v[100:101], v[24:25]
	s_delay_alu instid0(VALU_DEP_2) | instskip(NEXT) | instid1(VALU_DEP_2)
	v_fma_f64 v[24:25], v[98:99], v[24:25], v[44:45]
	v_fma_f64 v[26:27], v[98:99], v[26:27], -v[46:47]
	v_fma_f64 v[44:45], v[104:105], v[14:15], -v[48:49]
	v_add_co_u32 v46, s0, v4, s8
	s_wait_alu 0xf1ff
	v_add_co_ci_u32_e64 v47, s0, s9, v5, s0
	s_wait_loadcnt 0x0
	v_mad_co_u64_u32 v[42:43], null, s4, v9, 0
	v_add_co_u32 v48, s0, v46, s6
	v_mul_f64_e32 v[4:5], s[2:3], v[50:51]
	s_wait_alu 0xf1ff
	v_add_co_ci_u32_e64 v49, s0, s7, v47, s0
	s_delay_alu instid0(VALU_DEP_3) | instskip(SKIP_2) | instid1(VALU_DEP_3)
	v_add_co_u32 v62, s0, v48, s6
	v_mov_b32_e32 v8, v43
	s_wait_alu 0xf1ff
	v_add_co_ci_u32_e64 v63, s0, s7, v49, s0
	v_mul_f64_e32 v[14:15], s[2:3], v[60:61]
	global_store_b128 v[46:47], v[32:35], off
	global_store_b128 v[48:49], v[28:31], off
	;; [unrolled: 1-line block ×3, first 2 shown]
	v_mad_co_u64_u32 v[50:51], null, s5, v9, v[8:9]
	v_mul_f64_e32 v[8:9], s[2:3], v[52:53]
	v_mad_co_u64_u32 v[51:52], null, 0x1b00, s4, v[62:63]
	s_delay_alu instid0(VALU_DEP_1) | instskip(NEXT) | instid1(VALU_DEP_2)
	v_dual_mov_b32 v43, v50 :: v_dual_add_nc_u32 v52, s10, v52
	v_add_co_u32 v2, s0, v51, s6
	s_delay_alu instid0(VALU_DEP_2) | instskip(SKIP_1) | instid1(VALU_DEP_3)
	v_lshlrev_b64_e32 v[0:1], 4, v[42:43]
	s_wait_alu 0xf1ff
	v_add_co_ci_u32_e64 v3, s0, s7, v52, s0
	v_mul_f64_e32 v[24:25], s[2:3], v[24:25]
	v_mul_f64_e32 v[26:27], s[2:3], v[26:27]
	;; [unrolled: 1-line block ×3, first 2 shown]
	v_add_co_u32 v28, s0, v2, s6
	s_wait_alu 0xf1ff
	v_add_co_ci_u32_e64 v29, s0, s7, v3, s0
	v_add_co_u32 v0, s0, v92, v0
	s_wait_alu 0xf1ff
	v_add_co_ci_u32_e64 v1, s0, v93, v1, s0
	;; [unrolled: 3-line block ×3, first 2 shown]
	global_store_b128 v[0:1], v[4:7], off
	v_add_co_u32 v4, s0, v30, s6
	s_wait_alu 0xf1ff
	v_add_co_ci_u32_e64 v5, s0, s7, v31, s0
	s_delay_alu instid0(VALU_DEP_2) | instskip(SKIP_1) | instid1(VALU_DEP_2)
	v_add_co_u32 v0, s0, v4, s6
	s_wait_alu 0xf1ff
	v_add_co_ci_u32_e64 v1, s0, s7, v5, s0
	global_store_b128 v[51:52], v[8:11], off
	global_store_b128 v[2:3], v[12:15], off
	;; [unrolled: 1-line block ×6, first 2 shown]
	s_and_b32 exec_lo, exec_lo, vcc_lo
	s_cbranch_execz .LBB0_15
; %bb.14:
	scratch_load_b64 v[20:21], off, off offset:4 th:TH_LOAD_LU ; 8-byte Folded Reload
	s_wait_loadcnt 0x0
	global_load_b128 v[2:5], v[20:21], off offset:2880
	ds_load_b128 v[6:9], v216 offset:2880
	ds_load_b128 v[10:13], v216 offset:33984
	s_wait_loadcnt_dscnt 0x1
	v_mul_f64_e32 v[14:15], v[8:9], v[4:5]
	v_mul_f64_e32 v[4:5], v[6:7], v[4:5]
	s_delay_alu instid0(VALU_DEP_2) | instskip(NEXT) | instid1(VALU_DEP_2)
	v_fma_f64 v[6:7], v[6:7], v[2:3], v[14:15]
	v_fma_f64 v[4:5], v[2:3], v[8:9], -v[4:5]
	v_add_co_u32 v8, vcc_lo, v0, s8
	s_wait_alu 0xfffd
	v_add_co_ci_u32_e32 v9, vcc_lo, s9, v1, vcc_lo
	s_delay_alu instid0(VALU_DEP_4) | instskip(NEXT) | instid1(VALU_DEP_4)
	v_mul_f64_e32 v[2:3], s[2:3], v[6:7]
	v_mul_f64_e32 v[4:5], s[2:3], v[4:5]
	global_store_b128 v[8:9], v[2:5], off
	global_load_b128 v[0:3], v[20:21], off offset:6336
	ds_load_b128 v[4:7], v216 offset:6336
	ds_load_b128 v[14:17], v216 offset:9792
	s_wait_loadcnt_dscnt 0x1
	v_mul_f64_e32 v[18:19], v[6:7], v[2:3]
	v_mul_f64_e32 v[2:3], v[4:5], v[2:3]
	s_delay_alu instid0(VALU_DEP_2) | instskip(NEXT) | instid1(VALU_DEP_2)
	v_fma_f64 v[4:5], v[4:5], v[0:1], v[18:19]
	v_fma_f64 v[2:3], v[0:1], v[6:7], -v[2:3]
	s_delay_alu instid0(VALU_DEP_2) | instskip(NEXT) | instid1(VALU_DEP_2)
	v_mul_f64_e32 v[0:1], s[2:3], v[4:5]
	v_mul_f64_e32 v[2:3], s[2:3], v[2:3]
	v_add_co_u32 v4, vcc_lo, v8, s6
	s_wait_alu 0xfffd
	v_add_co_ci_u32_e32 v5, vcc_lo, s7, v9, vcc_lo
	s_delay_alu instid0(VALU_DEP_2) | instskip(SKIP_1) | instid1(VALU_DEP_2)
	v_add_co_u32 v8, vcc_lo, v4, s6
	s_wait_alu 0xfffd
	v_add_co_ci_u32_e32 v9, vcc_lo, s7, v5, vcc_lo
	global_store_b128 v[4:5], v[0:3], off
	global_load_b128 v[0:3], v[20:21], off offset:9792
	s_wait_loadcnt_dscnt 0x0
	v_mul_f64_e32 v[6:7], v[16:17], v[2:3]
	v_mul_f64_e32 v[2:3], v[14:15], v[2:3]
	s_delay_alu instid0(VALU_DEP_2) | instskip(NEXT) | instid1(VALU_DEP_2)
	v_fma_f64 v[6:7], v[14:15], v[0:1], v[6:7]
	v_fma_f64 v[2:3], v[0:1], v[16:17], -v[2:3]
	s_delay_alu instid0(VALU_DEP_2) | instskip(NEXT) | instid1(VALU_DEP_2)
	v_mul_f64_e32 v[0:1], s[2:3], v[6:7]
	v_mul_f64_e32 v[2:3], s[2:3], v[2:3]
	global_store_b128 v[8:9], v[0:3], off
	global_load_b128 v[0:3], v[20:21], off offset:13248
	ds_load_b128 v[4:7], v216 offset:13248
	ds_load_b128 v[14:17], v216 offset:16704
	s_wait_loadcnt_dscnt 0x1
	v_mul_f64_e32 v[18:19], v[6:7], v[2:3]
	v_mul_f64_e32 v[2:3], v[4:5], v[2:3]
	s_delay_alu instid0(VALU_DEP_2) | instskip(NEXT) | instid1(VALU_DEP_2)
	v_fma_f64 v[4:5], v[4:5], v[0:1], v[18:19]
	v_fma_f64 v[2:3], v[0:1], v[6:7], -v[2:3]
	s_delay_alu instid0(VALU_DEP_2) | instskip(NEXT) | instid1(VALU_DEP_2)
	v_mul_f64_e32 v[0:1], s[2:3], v[4:5]
	v_mul_f64_e32 v[2:3], s[2:3], v[2:3]
	v_add_co_u32 v4, vcc_lo, v8, s6
	s_wait_alu 0xfffd
	v_add_co_ci_u32_e32 v5, vcc_lo, s7, v9, vcc_lo
	s_delay_alu instid0(VALU_DEP_2) | instskip(SKIP_1) | instid1(VALU_DEP_2)
	v_add_co_u32 v8, vcc_lo, v4, s6
	s_wait_alu 0xfffd
	v_add_co_ci_u32_e32 v9, vcc_lo, s7, v5, vcc_lo
	global_store_b128 v[4:5], v[0:3], off
	global_load_b128 v[0:3], v[20:21], off offset:16704
	s_wait_loadcnt_dscnt 0x0
	v_mul_f64_e32 v[6:7], v[16:17], v[2:3]
	v_mul_f64_e32 v[2:3], v[14:15], v[2:3]
	s_delay_alu instid0(VALU_DEP_2) | instskip(NEXT) | instid1(VALU_DEP_2)
	v_fma_f64 v[6:7], v[14:15], v[0:1], v[6:7]
	v_fma_f64 v[2:3], v[0:1], v[16:17], -v[2:3]
	s_delay_alu instid0(VALU_DEP_2) | instskip(NEXT) | instid1(VALU_DEP_2)
	;; [unrolled: 31-line block ×3, first 2 shown]
	v_mul_f64_e32 v[0:1], s[2:3], v[6:7]
	v_mul_f64_e32 v[2:3], s[2:3], v[2:3]
	global_store_b128 v[8:9], v[0:3], off
	global_load_b128 v[0:3], v[20:21], off offset:27072
	ds_load_b128 v[4:7], v216 offset:27072
	ds_load_b128 v[14:17], v216 offset:30528
	s_wait_loadcnt_dscnt 0x1
	v_mul_f64_e32 v[18:19], v[6:7], v[2:3]
	v_mul_f64_e32 v[2:3], v[4:5], v[2:3]
	s_delay_alu instid0(VALU_DEP_2) | instskip(NEXT) | instid1(VALU_DEP_2)
	v_fma_f64 v[4:5], v[4:5], v[0:1], v[18:19]
	v_fma_f64 v[2:3], v[0:1], v[6:7], -v[2:3]
	s_delay_alu instid0(VALU_DEP_2) | instskip(NEXT) | instid1(VALU_DEP_2)
	v_mul_f64_e32 v[0:1], s[2:3], v[4:5]
	v_mul_f64_e32 v[2:3], s[2:3], v[2:3]
	v_add_co_u32 v4, vcc_lo, v8, s6
	s_wait_alu 0xfffd
	v_add_co_ci_u32_e32 v5, vcc_lo, s7, v9, vcc_lo
	global_store_b128 v[4:5], v[0:3], off
	global_load_b128 v[0:3], v[20:21], off offset:30528
	v_add_co_u32 v4, vcc_lo, v4, s6
	s_wait_alu 0xfffd
	v_add_co_ci_u32_e32 v5, vcc_lo, s7, v5, vcc_lo
	s_wait_loadcnt_dscnt 0x0
	v_mul_f64_e32 v[6:7], v[16:17], v[2:3]
	v_mul_f64_e32 v[2:3], v[14:15], v[2:3]
	s_delay_alu instid0(VALU_DEP_2) | instskip(NEXT) | instid1(VALU_DEP_2)
	v_fma_f64 v[6:7], v[14:15], v[0:1], v[6:7]
	v_fma_f64 v[2:3], v[0:1], v[16:17], -v[2:3]
	s_delay_alu instid0(VALU_DEP_2) | instskip(NEXT) | instid1(VALU_DEP_2)
	v_mul_f64_e32 v[0:1], s[2:3], v[6:7]
	v_mul_f64_e32 v[2:3], s[2:3], v[2:3]
	global_store_b128 v[4:5], v[0:3], off
	global_load_b128 v[0:3], v[20:21], off offset:33984
	v_add_co_u32 v4, vcc_lo, v4, s6
	s_wait_alu 0xfffd
	v_add_co_ci_u32_e32 v5, vcc_lo, s7, v5, vcc_lo
	s_wait_loadcnt 0x0
	v_mul_f64_e32 v[6:7], v[12:13], v[2:3]
	v_mul_f64_e32 v[2:3], v[10:11], v[2:3]
	s_delay_alu instid0(VALU_DEP_2) | instskip(NEXT) | instid1(VALU_DEP_2)
	v_fma_f64 v[6:7], v[10:11], v[0:1], v[6:7]
	v_fma_f64 v[2:3], v[0:1], v[12:13], -v[2:3]
	s_delay_alu instid0(VALU_DEP_2) | instskip(NEXT) | instid1(VALU_DEP_2)
	v_mul_f64_e32 v[0:1], s[2:3], v[6:7]
	v_mul_f64_e32 v[2:3], s[2:3], v[2:3]
	global_store_b128 v[4:5], v[0:3], off
.LBB0_15:
	s_nop 0
	s_sendmsg sendmsg(MSG_DEALLOC_VGPRS)
	s_endpgm
	.section	.rodata,"a",@progbits
	.p2align	6, 0x0
	.amdhsa_kernel bluestein_single_back_len2160_dim1_dp_op_CI_CI
		.amdhsa_group_segment_fixed_size 34560
		.amdhsa_private_segment_fixed_size 1948
		.amdhsa_kernarg_size 104
		.amdhsa_user_sgpr_count 2
		.amdhsa_user_sgpr_dispatch_ptr 0
		.amdhsa_user_sgpr_queue_ptr 0
		.amdhsa_user_sgpr_kernarg_segment_ptr 1
		.amdhsa_user_sgpr_dispatch_id 0
		.amdhsa_user_sgpr_private_segment_size 0
		.amdhsa_wavefront_size32 1
		.amdhsa_uses_dynamic_stack 0
		.amdhsa_enable_private_segment 1
		.amdhsa_system_sgpr_workgroup_id_x 1
		.amdhsa_system_sgpr_workgroup_id_y 0
		.amdhsa_system_sgpr_workgroup_id_z 0
		.amdhsa_system_sgpr_workgroup_info 0
		.amdhsa_system_vgpr_workitem_id 0
		.amdhsa_next_free_vgpr 256
		.amdhsa_next_free_sgpr 23
		.amdhsa_reserve_vcc 1
		.amdhsa_float_round_mode_32 0
		.amdhsa_float_round_mode_16_64 0
		.amdhsa_float_denorm_mode_32 3
		.amdhsa_float_denorm_mode_16_64 3
		.amdhsa_fp16_overflow 0
		.amdhsa_workgroup_processor_mode 1
		.amdhsa_memory_ordered 1
		.amdhsa_forward_progress 0
		.amdhsa_round_robin_scheduling 0
		.amdhsa_exception_fp_ieee_invalid_op 0
		.amdhsa_exception_fp_denorm_src 0
		.amdhsa_exception_fp_ieee_div_zero 0
		.amdhsa_exception_fp_ieee_overflow 0
		.amdhsa_exception_fp_ieee_underflow 0
		.amdhsa_exception_fp_ieee_inexact 0
		.amdhsa_exception_int_div_zero 0
	.end_amdhsa_kernel
	.text
.Lfunc_end0:
	.size	bluestein_single_back_len2160_dim1_dp_op_CI_CI, .Lfunc_end0-bluestein_single_back_len2160_dim1_dp_op_CI_CI
                                        ; -- End function
	.section	.AMDGPU.csdata,"",@progbits
; Kernel info:
; codeLenInByte = 47184
; NumSgprs: 25
; NumVgprs: 256
; ScratchSize: 1948
; MemoryBound: 0
; FloatMode: 240
; IeeeMode: 1
; LDSByteSize: 34560 bytes/workgroup (compile time only)
; SGPRBlocks: 3
; VGPRBlocks: 31
; NumSGPRsForWavesPerEU: 25
; NumVGPRsForWavesPerEU: 256
; Occupancy: 2
; WaveLimiterHint : 1
; COMPUTE_PGM_RSRC2:SCRATCH_EN: 1
; COMPUTE_PGM_RSRC2:USER_SGPR: 2
; COMPUTE_PGM_RSRC2:TRAP_HANDLER: 0
; COMPUTE_PGM_RSRC2:TGID_X_EN: 1
; COMPUTE_PGM_RSRC2:TGID_Y_EN: 0
; COMPUTE_PGM_RSRC2:TGID_Z_EN: 0
; COMPUTE_PGM_RSRC2:TIDIG_COMP_CNT: 0
	.text
	.p2alignl 7, 3214868480
	.fill 96, 4, 3214868480
	.type	__hip_cuid_9dede131de65b3c9,@object ; @__hip_cuid_9dede131de65b3c9
	.section	.bss,"aw",@nobits
	.globl	__hip_cuid_9dede131de65b3c9
__hip_cuid_9dede131de65b3c9:
	.byte	0                               ; 0x0
	.size	__hip_cuid_9dede131de65b3c9, 1

	.ident	"AMD clang version 19.0.0git (https://github.com/RadeonOpenCompute/llvm-project roc-6.4.0 25133 c7fe45cf4b819c5991fe208aaa96edf142730f1d)"
	.section	".note.GNU-stack","",@progbits
	.addrsig
	.addrsig_sym __hip_cuid_9dede131de65b3c9
	.amdgpu_metadata
---
amdhsa.kernels:
  - .args:
      - .actual_access:  read_only
        .address_space:  global
        .offset:         0
        .size:           8
        .value_kind:     global_buffer
      - .actual_access:  read_only
        .address_space:  global
        .offset:         8
        .size:           8
        .value_kind:     global_buffer
      - .actual_access:  read_only
        .address_space:  global
        .offset:         16
        .size:           8
        .value_kind:     global_buffer
      - .actual_access:  read_only
        .address_space:  global
        .offset:         24
        .size:           8
        .value_kind:     global_buffer
      - .actual_access:  read_only
        .address_space:  global
        .offset:         32
        .size:           8
        .value_kind:     global_buffer
      - .offset:         40
        .size:           8
        .value_kind:     by_value
      - .address_space:  global
        .offset:         48
        .size:           8
        .value_kind:     global_buffer
      - .address_space:  global
        .offset:         56
        .size:           8
        .value_kind:     global_buffer
      - .address_space:  global
        .offset:         64
        .size:           8
        .value_kind:     global_buffer
      - .address_space:  global
        .offset:         72
        .size:           8
        .value_kind:     global_buffer
      - .offset:         80
        .size:           4
        .value_kind:     by_value
      - .address_space:  global
        .offset:         88
        .size:           8
        .value_kind:     global_buffer
      - .address_space:  global
        .offset:         96
        .size:           8
        .value_kind:     global_buffer
    .group_segment_fixed_size: 34560
    .kernarg_segment_align: 8
    .kernarg_segment_size: 104
    .language:       OpenCL C
    .language_version:
      - 2
      - 0
    .max_flat_workgroup_size: 60
    .name:           bluestein_single_back_len2160_dim1_dp_op_CI_CI
    .private_segment_fixed_size: 1948
    .sgpr_count:     25
    .sgpr_spill_count: 0
    .symbol:         bluestein_single_back_len2160_dim1_dp_op_CI_CI.kd
    .uniform_work_group_size: 1
    .uses_dynamic_stack: false
    .vgpr_count:     256
    .vgpr_spill_count: 508
    .wavefront_size: 32
    .workgroup_processor_mode: 1
amdhsa.target:   amdgcn-amd-amdhsa--gfx1201
amdhsa.version:
  - 1
  - 2
...

	.end_amdgpu_metadata
